;; amdgpu-corpus repo=ROCm/rocFFT kind=compiled arch=gfx950 opt=O3
	.text
	.amdgcn_target "amdgcn-amd-amdhsa--gfx950"
	.amdhsa_code_object_version 6
	.protected	fft_rtc_back_len3750_factors_3_5_5_10_5_wgs_125_tpt_125_halfLds_sp_ip_CI_unitstride_sbrr_dirReg ; -- Begin function fft_rtc_back_len3750_factors_3_5_5_10_5_wgs_125_tpt_125_halfLds_sp_ip_CI_unitstride_sbrr_dirReg
	.globl	fft_rtc_back_len3750_factors_3_5_5_10_5_wgs_125_tpt_125_halfLds_sp_ip_CI_unitstride_sbrr_dirReg
	.p2align	8
	.type	fft_rtc_back_len3750_factors_3_5_5_10_5_wgs_125_tpt_125_halfLds_sp_ip_CI_unitstride_sbrr_dirReg,@function
fft_rtc_back_len3750_factors_3_5_5_10_5_wgs_125_tpt_125_halfLds_sp_ip_CI_unitstride_sbrr_dirReg: ; @fft_rtc_back_len3750_factors_3_5_5_10_5_wgs_125_tpt_125_halfLds_sp_ip_CI_unitstride_sbrr_dirReg
; %bb.0:
	s_load_dwordx2 s[8:9], s[0:1], 0x50
	s_load_dwordx4 s[4:7], s[0:1], 0x0
	s_load_dwordx2 s[10:11], s[0:1], 0x18
	v_mul_u32_u24_e32 v1, 0x20d, v0
	v_add_u32_sdwa v6, s2, v1 dst_sel:DWORD dst_unused:UNUSED_PAD src0_sel:DWORD src1_sel:WORD_1
	v_mov_b32_e32 v4, 0
	s_waitcnt lgkmcnt(0)
	v_cmp_lt_u64_e64 s[2:3], s[6:7], 2
	v_mov_b32_e32 v7, v4
	s_and_b64 vcc, exec, s[2:3]
	v_mov_b64_e32 v[2:3], 0
	s_cbranch_vccnz .LBB0_8
; %bb.1:
	s_load_dwordx2 s[2:3], s[0:1], 0x10
	s_add_u32 s12, s10, 8
	s_addc_u32 s13, s11, 0
	s_mov_b64 s[14:15], 1
	v_mov_b64_e32 v[2:3], 0
	s_waitcnt lgkmcnt(0)
	s_add_u32 s16, s2, 8
	s_addc_u32 s17, s3, 0
.LBB0_2:                                ; =>This Inner Loop Header: Depth=1
	s_load_dwordx2 s[18:19], s[16:17], 0x0
                                        ; implicit-def: $vgpr8_vgpr9
	s_waitcnt lgkmcnt(0)
	v_or_b32_e32 v5, s19, v7
	v_cmp_ne_u64_e32 vcc, 0, v[4:5]
	s_and_saveexec_b64 s[2:3], vcc
	s_xor_b64 s[20:21], exec, s[2:3]
	s_cbranch_execz .LBB0_4
; %bb.3:                                ;   in Loop: Header=BB0_2 Depth=1
	v_cvt_f32_u32_e32 v1, s18
	v_cvt_f32_u32_e32 v5, s19
	s_sub_u32 s2, 0, s18
	s_subb_u32 s3, 0, s19
	v_fmac_f32_e32 v1, 0x4f800000, v5
	v_rcp_f32_e32 v1, v1
	s_nop 0
	v_mul_f32_e32 v1, 0x5f7ffffc, v1
	v_mul_f32_e32 v5, 0x2f800000, v1
	v_trunc_f32_e32 v5, v5
	v_fmac_f32_e32 v1, 0xcf800000, v5
	v_cvt_u32_f32_e32 v5, v5
	v_cvt_u32_f32_e32 v1, v1
	v_mul_lo_u32 v8, s2, v5
	v_mul_hi_u32 v10, s2, v1
	v_mul_lo_u32 v9, s3, v1
	v_add_u32_e32 v10, v10, v8
	v_mul_lo_u32 v12, s2, v1
	v_add_u32_e32 v13, v10, v9
	v_mul_hi_u32 v8, v1, v12
	v_mul_hi_u32 v11, v1, v13
	v_mul_lo_u32 v10, v1, v13
	v_mov_b32_e32 v9, v4
	v_lshl_add_u64 v[8:9], v[8:9], 0, v[10:11]
	v_mul_hi_u32 v11, v5, v12
	v_mul_lo_u32 v12, v5, v12
	v_add_co_u32_e32 v8, vcc, v8, v12
	v_mul_hi_u32 v10, v5, v13
	s_nop 0
	v_addc_co_u32_e32 v8, vcc, v9, v11, vcc
	v_mov_b32_e32 v9, v4
	s_nop 0
	v_addc_co_u32_e32 v11, vcc, 0, v10, vcc
	v_mul_lo_u32 v10, v5, v13
	v_lshl_add_u64 v[8:9], v[8:9], 0, v[10:11]
	v_add_co_u32_e32 v1, vcc, v1, v8
	v_mul_lo_u32 v10, s2, v1
	s_nop 0
	v_addc_co_u32_e32 v5, vcc, v5, v9, vcc
	v_mul_lo_u32 v8, s2, v5
	v_mul_hi_u32 v9, s2, v1
	v_add_u32_e32 v8, v9, v8
	v_mul_lo_u32 v9, s3, v1
	v_add_u32_e32 v12, v8, v9
	v_mul_hi_u32 v14, v5, v10
	v_mul_lo_u32 v15, v5, v10
	v_mul_hi_u32 v9, v1, v12
	v_mul_lo_u32 v8, v1, v12
	v_mul_hi_u32 v10, v1, v10
	v_mov_b32_e32 v11, v4
	v_lshl_add_u64 v[8:9], v[10:11], 0, v[8:9]
	v_add_co_u32_e32 v8, vcc, v8, v15
	v_mul_hi_u32 v13, v5, v12
	s_nop 0
	v_addc_co_u32_e32 v8, vcc, v9, v14, vcc
	v_mul_lo_u32 v10, v5, v12
	s_nop 0
	v_addc_co_u32_e32 v11, vcc, 0, v13, vcc
	v_mov_b32_e32 v9, v4
	v_lshl_add_u64 v[8:9], v[8:9], 0, v[10:11]
	v_add_co_u32_e32 v1, vcc, v1, v8
	v_mul_hi_u32 v10, v6, v1
	s_nop 0
	v_addc_co_u32_e32 v5, vcc, v5, v9, vcc
	v_mad_u64_u32 v[8:9], s[2:3], v6, v5, 0
	v_mov_b32_e32 v11, v4
	v_lshl_add_u64 v[8:9], v[10:11], 0, v[8:9]
	v_mad_u64_u32 v[12:13], s[2:3], v7, v1, 0
	v_add_co_u32_e32 v1, vcc, v8, v12
	v_mad_u64_u32 v[10:11], s[2:3], v7, v5, 0
	s_nop 0
	v_addc_co_u32_e32 v8, vcc, v9, v13, vcc
	v_mov_b32_e32 v9, v4
	s_nop 0
	v_addc_co_u32_e32 v11, vcc, 0, v11, vcc
	v_lshl_add_u64 v[8:9], v[8:9], 0, v[10:11]
	v_mul_lo_u32 v1, s19, v8
	v_mul_lo_u32 v5, s18, v9
	v_mad_u64_u32 v[10:11], s[2:3], s18, v8, 0
	v_add3_u32 v1, v11, v5, v1
	v_sub_u32_e32 v5, v7, v1
	v_mov_b32_e32 v11, s19
	v_sub_co_u32_e32 v14, vcc, v6, v10
	v_lshl_add_u64 v[12:13], v[8:9], 0, 1
	s_nop 0
	v_subb_co_u32_e64 v5, s[2:3], v5, v11, vcc
	v_subrev_co_u32_e64 v10, s[2:3], s18, v14
	v_subb_co_u32_e32 v1, vcc, v7, v1, vcc
	s_nop 0
	v_subbrev_co_u32_e64 v5, s[2:3], 0, v5, s[2:3]
	v_cmp_le_u32_e64 s[2:3], s19, v5
	v_cmp_le_u32_e32 vcc, s19, v1
	s_nop 0
	v_cndmask_b32_e64 v11, 0, -1, s[2:3]
	v_cmp_le_u32_e64 s[2:3], s18, v10
	s_nop 1
	v_cndmask_b32_e64 v10, 0, -1, s[2:3]
	v_cmp_eq_u32_e64 s[2:3], s19, v5
	s_nop 1
	v_cndmask_b32_e64 v5, v11, v10, s[2:3]
	v_lshl_add_u64 v[10:11], v[8:9], 0, 2
	v_cmp_ne_u32_e64 s[2:3], 0, v5
	s_nop 1
	v_cndmask_b32_e64 v5, v13, v11, s[2:3]
	v_cndmask_b32_e64 v11, 0, -1, vcc
	v_cmp_le_u32_e32 vcc, s18, v14
	s_nop 1
	v_cndmask_b32_e64 v13, 0, -1, vcc
	v_cmp_eq_u32_e32 vcc, s19, v1
	s_nop 1
	v_cndmask_b32_e32 v1, v11, v13, vcc
	v_cmp_ne_u32_e32 vcc, 0, v1
	v_cndmask_b32_e64 v1, v12, v10, s[2:3]
	s_nop 0
	v_cndmask_b32_e32 v9, v9, v5, vcc
	v_cndmask_b32_e32 v8, v8, v1, vcc
.LBB0_4:                                ;   in Loop: Header=BB0_2 Depth=1
	s_andn2_saveexec_b64 s[2:3], s[20:21]
	s_cbranch_execz .LBB0_6
; %bb.5:                                ;   in Loop: Header=BB0_2 Depth=1
	v_cvt_f32_u32_e32 v1, s18
	s_sub_i32 s20, 0, s18
	v_rcp_iflag_f32_e32 v1, v1
	s_nop 0
	v_mul_f32_e32 v1, 0x4f7ffffe, v1
	v_cvt_u32_f32_e32 v1, v1
	v_mul_lo_u32 v5, s20, v1
	v_mul_hi_u32 v5, v1, v5
	v_add_u32_e32 v1, v1, v5
	v_mul_hi_u32 v1, v6, v1
	v_mul_lo_u32 v5, v1, s18
	v_sub_u32_e32 v5, v6, v5
	v_add_u32_e32 v8, 1, v1
	v_subrev_u32_e32 v9, s18, v5
	v_cmp_le_u32_e32 vcc, s18, v5
	s_nop 1
	v_cndmask_b32_e32 v5, v5, v9, vcc
	v_cndmask_b32_e32 v1, v1, v8, vcc
	v_add_u32_e32 v8, 1, v1
	v_cmp_le_u32_e32 vcc, s18, v5
	v_mov_b32_e32 v9, v4
	s_nop 0
	v_cndmask_b32_e32 v8, v1, v8, vcc
.LBB0_6:                                ;   in Loop: Header=BB0_2 Depth=1
	s_or_b64 exec, exec, s[2:3]
	v_mad_u64_u32 v[10:11], s[2:3], v8, s18, 0
	s_load_dwordx2 s[2:3], s[12:13], 0x0
	v_mul_lo_u32 v1, v9, s18
	v_mul_lo_u32 v5, v8, s19
	v_add3_u32 v1, v11, v5, v1
	v_sub_co_u32_e32 v5, vcc, v6, v10
	s_add_u32 s14, s14, 1
	s_nop 0
	v_subb_co_u32_e32 v1, vcc, v7, v1, vcc
	s_addc_u32 s15, s15, 0
	s_waitcnt lgkmcnt(0)
	v_mul_lo_u32 v1, s2, v1
	v_mul_lo_u32 v6, s3, v5
	v_mad_u64_u32 v[2:3], s[2:3], s2, v5, v[2:3]
	s_add_u32 s12, s12, 8
	v_add3_u32 v3, v6, v3, v1
	s_addc_u32 s13, s13, 0
	v_mov_b64_e32 v[6:7], s[6:7]
	s_add_u32 s16, s16, 8
	v_cmp_ge_u64_e32 vcc, s[14:15], v[6:7]
	s_addc_u32 s17, s17, 0
	s_cbranch_vccnz .LBB0_9
; %bb.7:                                ;   in Loop: Header=BB0_2 Depth=1
	v_mov_b64_e32 v[6:7], v[8:9]
	s_branch .LBB0_2
.LBB0_8:
	v_mov_b64_e32 v[8:9], v[6:7]
.LBB0_9:
	s_lshl_b64 s[2:3], s[6:7], 3
	s_add_u32 s2, s10, s2
	s_addc_u32 s3, s11, s3
	s_load_dwordx2 s[6:7], s[2:3], 0x0
	s_load_dwordx2 s[10:11], s[0:1], 0x20
	s_mov_b32 s2, 0x20c49bb
                                        ; implicit-def: $vgpr10
                                        ; implicit-def: $vgpr34
                                        ; implicit-def: $vgpr20
                                        ; implicit-def: $vgpr22
                                        ; implicit-def: $vgpr12
                                        ; implicit-def: $vgpr42
                                        ; implicit-def: $vgpr24
                                        ; implicit-def: $vgpr26
                                        ; implicit-def: $vgpr14
                                        ; implicit-def: $vgpr48
                                        ; implicit-def: $vgpr30
                                        ; implicit-def: $vgpr28
                                        ; implicit-def: $vgpr94
                                        ; implicit-def: $vgpr50
                                        ; implicit-def: $vgpr36
                                        ; implicit-def: $vgpr32
                                        ; implicit-def: $vgpr102
                                        ; implicit-def: $vgpr56
                                        ; implicit-def: $vgpr38
                                        ; implicit-def: $vgpr40
                                        ; implicit-def: $vgpr98
                                        ; implicit-def: $vgpr60
                                        ; implicit-def: $vgpr44
                                        ; implicit-def: $vgpr46
                                        ; implicit-def: $vgpr96
                                        ; implicit-def: $vgpr64
                                        ; implicit-def: $vgpr54
                                        ; implicit-def: $vgpr62
                                        ; implicit-def: $vgpr90
                                        ; implicit-def: $vgpr66
                                        ; implicit-def: $vgpr88
                                        ; implicit-def: $vgpr6
                                        ; implicit-def: $vgpr52
                                        ; implicit-def: $vgpr58
                                        ; implicit-def: $vgpr92
                                        ; implicit-def: $vgpr68
	s_waitcnt lgkmcnt(0)
	v_mul_lo_u32 v1, s6, v9
	v_mul_lo_u32 v4, s7, v8
	v_mad_u64_u32 v[2:3], s[0:1], s6, v8, v[2:3]
	v_add3_u32 v3, v4, v3, v1
	v_mul_hi_u32 v1, v0, s2
	v_mul_u32_u24_e32 v1, 0x7d, v1
	v_cmp_gt_u64_e64 s[0:1], s[10:11], v[8:9]
	v_sub_u32_e32 v18, v0, v1
	v_lshl_add_u64 v[16:17], v[2:3], 3, s[8:9]
                                        ; implicit-def: $vgpr2
                                        ; implicit-def: $vgpr8
                                        ; implicit-def: $vgpr0
                                        ; implicit-def: $vgpr4
	s_and_saveexec_b64 s[2:3], s[0:1]
	s_cbranch_execz .LBB0_11
; %bb.10:
	v_mov_b32_e32 v19, 0
	v_lshl_add_u64 v[2:3], v[18:19], 3, v[16:17]
	v_add_co_u32_e32 v6, vcc, 0x2000, v2
	s_movk_i32 s6, 0x7000
	s_nop 0
	v_addc_co_u32_e32 v7, vcc, 0, v3, vcc
	v_add_co_u32_e32 v34, vcc, 0x4000, v2
	global_load_dwordx2 v[92:93], v[2:3], off
	global_load_dwordx2 v[88:89], v[2:3], off offset:1000
	global_load_dwordx2 v[90:91], v[2:3], off offset:2000
	global_load_dwordx2 v[96:97], v[2:3], off offset:3000
	v_addc_co_u32_e32 v35, vcc, 0, v3, vcc
	v_add_co_u32_e32 v4, vcc, 0x5000, v2
	s_waitcnt vmcnt(3)
	v_mov_b32_e32 v68, v93
	v_addc_co_u32_e32 v5, vcc, 0, v3, vcc
	v_add_co_u32_e32 v8, vcc, 0x3000, v2
	s_waitcnt vmcnt(0)
	v_mov_b32_e32 v64, v97
	v_addc_co_u32_e32 v9, vcc, 0, v3, vcc
	v_add_co_u32_e32 v20, vcc, 0x1000, v2
	global_load_dwordx2 v[52:53], v[34:35], off offset:3616
	global_load_dwordx2 v[0:1], v[4:5], off offset:520
	;; [unrolled: 1-line block ×9, first 2 shown]
	v_addc_co_u32_e32 v21, vcc, 0, v3, vcc
	v_add_co_u32_e32 v42, vcc, 0x6000, v2
	v_mov_b32_e32 v66, v91
	s_nop 0
	v_addc_co_u32_e32 v43, vcc, 0, v3, vcc
	v_add_co_u32_e32 v48, vcc, s6, v2
	global_load_dwordx2 v[14:15], v[20:21], off offset:2904
	global_load_dwordx2 v[94:95], v[20:21], off offset:1904
	global_load_dwordx2 v[102:103], v[20:21], off offset:904
	global_load_dwordx2 v[28:29], v[8:9], off offset:3712
	global_load_dwordx2 v[24:25], v[42:43], off offset:2424
	global_load_dwordx2 v[12:13], v[20:21], off offset:3904
	global_load_dwordx2 v[4:5], v[6:7], off offset:2808
	global_load_dwordx2 v[58:59], v[6:7], off offset:1808
	global_load_dwordx2 v[10:11], v[6:7], off offset:808
	v_addc_co_u32_e32 v49, vcc, 0, v3, vcc
	global_load_dwordx2 v[62:63], v[6:7], off offset:3808
	global_load_dwordx2 v[26:27], v[34:35], off offset:616
	;; [unrolled: 1-line block ×8, first 2 shown]
	v_mov_b32_e32 v6, v89
	s_waitcnt vmcnt(21)
	v_mov_b32_e32 v60, v99
	s_waitcnt vmcnt(16)
	;; [unrolled: 2-line block ×6, first 2 shown]
	v_mov_b32_e32 v34, v11
.LBB0_11:
	s_or_b64 exec, exec, s[2:3]
	v_pk_add_f32 v[82:83], v[52:53], v[58:59]
	v_pk_add_f32 v[78:79], v[58:59], v[52:53] neg_lo:[0,1] neg_hi:[0,1]
	v_pk_add_f32 v[70:71], v[0:1], v[4:5]
	v_pk_add_f32 v[80:81], v[4:5], v[0:1] neg_lo:[0,1] neg_hi:[0,1]
	v_mul_f32_e32 v113, 0.5, v82
	v_mul_f32_e32 v93, 0x3f5db3d7, v79
	v_mul_f32_e32 v115, 0.5, v70
	v_mul_f32_e32 v89, 0x3f5db3d7, v81
	v_mov_b32_e32 v112, v58
	v_mov_b32_e32 v114, v4
	s_waitcnt vmcnt(7)
	v_pk_add_f32 v[86:87], v[54:55], v[62:63]
	v_pk_add_f32 v[84:85], v[62:63], v[54:55] neg_lo:[0,1] neg_hi:[0,1]
	v_mad_u32_u24 v35, v18, 12, 0
	v_pk_add_f32 v[112:113], v[92:93], v[112:113] op_sel_hi:[0,1] neg_lo:[0,1] neg_hi:[0,1]
	v_pk_add_f32 v[116:117], v[92:93], v[58:59]
	v_mov_b32_e32 v92, v52
	v_pk_add_f32 v[114:115], v[88:89], v[114:115] op_sel_hi:[0,1] neg_lo:[0,1] neg_hi:[0,1]
	v_pk_add_f32 v[118:119], v[88:89], v[4:5]
	v_mov_b32_e32 v88, v0
	v_mul_f32_e32 v101, 0.5, v86
	v_mul_f32_e32 v91, 0x3f5db3d7, v85
	v_pk_add_f32 v[76:77], v[44:45], v[46:47]
	v_pk_add_f32 v[116:117], v[116:117], v[52:53]
	v_pk_add_f32 v[92:93], v[112:113], v[92:93] neg_lo:[0,1] neg_hi:[0,1]
	v_add_u32_e32 v43, 0x5dc, v35
	v_pk_add_f32 v[118:119], v[118:119], v[0:1]
	v_pk_add_f32 v[88:89], v[114:115], v[88:89] neg_lo:[0,1] neg_hi:[0,1]
	v_mov_b32_e32 v100, v62
	v_mul_f32_e32 v97, 0.5, v71
	v_mul_f32_e32 v111, 0.5, v76
	v_pk_add_f32 v[72:73], v[46:47], v[44:45] neg_lo:[0,1] neg_hi:[0,1]
	v_pk_add_f32 v[74:75], v[38:39], v[40:41]
	ds_write2_b32 v35, v116, v93 offset1:1
	s_waitcnt vmcnt(2)
	v_pk_add_f32 v[92:93], v[36:37], v[32:33]
	ds_write2_b32 v43, v118, v89 offset1:1
	v_pk_add_f32 v[118:119], v[90:91], v[100:101] op_sel_hi:[0,1] neg_lo:[0,1] neg_hi:[0,1]
	v_pk_add_f32 v[100:101], v[90:91], v[62:63]
	v_mov_b32_e32 v90, v54
	v_fmac_f32_e32 v115, 0x3f5db3d7, v81
	v_mov_b32_e32 v110, v46
	v_mul_f32_e32 v109, 0x3f5db3d7, v73
	v_mul_f32_e32 v107, 0.5, v74
	v_pk_add_f32 v[70:71], v[40:41], v[38:39] neg_lo:[0,1] neg_hi:[0,1]
	v_mul_f32_e32 v117, 0.5, v92
	v_pk_add_f32 v[88:89], v[32:33], v[36:37] neg_lo:[0,1] neg_hi:[0,1]
	v_add_u32_e32 v49, 0xbb8, v35
	v_pk_add_f32 v[100:101], v[100:101], v[54:55]
	v_pk_add_f32 v[90:91], v[118:119], v[90:91] neg_lo:[0,1] neg_hi:[0,1]
	ds_write_b32 v35, v115 offset:1508
	v_add_u32_e32 v19, 0x177, v18
	v_pk_add_f32 v[110:111], v[96:97], v[110:111] op_sel_hi:[0,1] neg_lo:[0,1] neg_hi:[0,1]
	v_pk_add_f32 v[114:115], v[96:97], v[46:47]
	v_mov_b32_e32 v108, v44
	v_mov_b32_e32 v106, v40
	;; [unrolled: 1-line block ×3, first 2 shown]
	v_mul_f32_e32 v105, 0x3f5db3d7, v71
	ds_write2_b32 v49, v100, v91 offset1:1
	v_mul_f32_e32 v121, 0x3f5db3d7, v89
	v_pk_add_f32 v[100:101], v[30:31], v[28:29]
	v_fmac_f32_e32 v113, 0x3f5db3d7, v79
	v_fmac_f32_e32 v119, 0x3f5db3d7, v85
	v_mad_u32_u24 v62, v19, 12, 0
	v_pk_add_f32 v[114:115], v[114:115], v[44:45]
	v_pk_add_f32 v[108:109], v[110:111], v[108:109] neg_lo:[0,1] neg_hi:[0,1]
	v_add_u32_e32 v92, 0x1f4, v18
	v_fmac_f32_e32 v111, 0x3f5db3d7, v73
	v_pk_add_f32 v[106:107], v[98:99], v[106:107] op_sel_hi:[0,1] neg_lo:[0,1] neg_hi:[0,1]
	v_pk_add_f32 v[98:99], v[98:99], v[40:41]
	v_mov_b32_e32 v104, v38
	v_pk_add_f32 v[116:117], v[102:103], v[116:117] op_sel_hi:[0,1] neg_lo:[0,1] neg_hi:[0,1]
	v_pk_add_f32 v[102:103], v[102:103], v[32:33]
	v_mov_b32_e32 v120, v36
	ds_write_b32 v35, v113 offset:8
	v_mul_f32_e32 v113, 0.5, v100
	v_pk_add_f32 v[90:91], v[28:29], v[30:31] neg_lo:[0,1] neg_hi:[0,1]
	ds_write_b32 v35, v119 offset:3008
	ds_write2_b32 v62, v114, v109 offset1:1
	v_pk_add_f32 v[114:115], v[24:25], v[26:27]
	ds_write_b32 v62, v111 offset:8
	v_mad_u32_u24 v65, v92, 12, 0
	v_pk_add_f32 v[98:99], v[98:99], v[38:39]
	v_pk_add_f32 v[104:105], v[106:107], v[104:105] neg_lo:[0,1] neg_hi:[0,1]
	v_fmac_f32_e32 v107, 0x3f5db3d7, v71
	v_add_u32_e32 v38, 0x1d4c, v35
	v_pk_add_f32 v[102:103], v[102:103], v[36:37]
	v_pk_add_f32 v[110:111], v[116:117], v[120:121] neg_lo:[0,1] neg_hi:[0,1]
	v_mov_b32_e32 v112, v28
	v_mul_f32_e32 v109, 0x3f5db3d7, v91
	ds_write2_b32 v65, v98, v105 offset1:1
	v_mul_f32_e32 v105, 0.5, v114
	v_pk_add_f32 v[98:99], v[26:27], v[24:25] neg_lo:[0,1] neg_hi:[0,1]
	ds_write_b32 v65, v107 offset:8
	ds_write2_b32 v38, v102, v111 offset1:1
	v_pk_add_f32 v[102:103], v[94:95], v[112:113] op_sel_hi:[0,1] neg_lo:[0,1] neg_hi:[0,1]
	v_pk_add_f32 v[94:95], v[94:95], v[28:29]
	v_mov_b32_e32 v108, v30
	v_mov_b32_e32 v104, v26
	v_mul_f32_e32 v107, 0x3f5db3d7, v99
	s_waitcnt vmcnt(1)
	v_pk_add_f32 v[118:119], v[20:21], v[22:23]
	v_add_u32_e32 v36, 0x2328, v35
	v_pk_add_f32 v[94:95], v[94:95], v[30:31]
	v_pk_add_f32 v[108:109], v[102:103], v[108:109] neg_lo:[0,1] neg_hi:[0,1]
	v_pk_add_f32 v[104:105], v[14:15], v[104:105] op_sel_hi:[0,1] neg_lo:[0,1] neg_hi:[0,1]
	v_pk_add_f32 v[14:15], v[14:15], v[26:27]
	v_mov_b32_e32 v106, v24
	ds_write2_b32 v36, v94, v109 offset1:1
	v_mul_f32_e32 v95, 0.5, v118
	v_pk_add_f32 v[110:111], v[22:23], v[20:21] neg_lo:[0,1] neg_hi:[0,1]
	v_add_u32_e32 v40, 0x2904, v35
	v_pk_add_f32 v[14:15], v[14:15], v[24:25]
	v_pk_add_f32 v[106:107], v[104:105], v[106:107] neg_lo:[0,1] neg_hi:[0,1]
	v_mov_b32_e32 v94, v22
	ds_write2_b32 v40, v14, v107 offset1:1
	v_mul_f32_e32 v15, 0x3f5db3d7, v111
	v_pk_add_f32 v[94:95], v[12:13], v[94:95] op_sel_hi:[0,1] neg_lo:[0,1] neg_hi:[0,1]
	v_pk_add_f32 v[12:13], v[12:13], v[22:23]
	v_mov_b32_e32 v14, v20
	v_add_u32_e32 v24, 0x2ee0, v35
	v_pk_add_f32 v[12:13], v[12:13], v[20:21]
	v_pk_add_f32 v[14:15], v[94:95], v[14:15] neg_lo:[0,1] neg_hi:[0,1]
	v_mul_f32_e32 v7, 0x3f5db3d7, v80
	s_waitcnt vmcnt(0)
	v_pk_add_f32 v[120:121], v[2:3], v[8:9]
	v_fmac_f32_e32 v117, 0x3f5db3d7, v89
	v_mov_b32_e32 v96, v5
	v_mov_b32_e32 v0, v5
	ds_write2_b32 v24, v12, v15 offset1:1
	ds_write_b32 v35, v117 offset:7508
	v_mul_f32_e32 v13, 0.5, v120
	v_pk_add_f32 v[116:117], v[8:9], v[2:3] neg_lo:[0,1] neg_hi:[0,1]
	v_fmac_f32_e32 v95, 0x3f5db3d7, v111
	v_mov_b32_e32 v12, v8
	v_pk_add_f32 v[4:5], v[6:7], v[0:1] op_sel_hi:[0,1]
	v_pk_add_f32 v[122:123], v[6:7], v[96:97] op_sel_hi:[0,1] neg_lo:[0,1] neg_hi:[0,1]
	v_mul_f32_e32 v15, 0x3f5db3d7, v117
	ds_write_b32 v35, v95 offset:12008
	v_pk_add_f32 v[94:95], v[10:11], v[8:9]
	v_pk_add_f32 v[10:11], v[10:11], v[12:13] op_sel_hi:[0,1] neg_lo:[0,1] neg_hi:[0,1]
	v_mov_b32_e32 v14, v2
	v_mov_b32_e32 v6, v1
	;; [unrolled: 1-line block ×3, first 2 shown]
	v_lshlrev_b32_e32 v111, 3, v92
	v_fmac_f32_e32 v103, 0x3f5db3d7, v91
	v_fmac_f32_e32 v105, 0x3f5db3d7, v99
	v_add_u32_e32 v20, 0x34bc, v35
	v_pk_add_f32 v[12:13], v[94:95], v[2:3]
	v_pk_add_f32 v[14:15], v[10:11], v[14:15] neg_lo:[0,1] neg_hi:[0,1]
	v_fmac_f32_e32 v11, 0x3f5db3d7, v117
	v_lshl_add_u32 v71, v18, 2, 0
	v_lshlrev_b32_e32 v86, 3, v19
	v_pk_add_f32 v[124:125], v[6:7], v[4:5]
	v_sub_u32_e32 v67, v65, v111
	ds_write_b32 v35, v103 offset:9008
	ds_write_b32 v35, v105 offset:10508
	ds_write2_b32 v20, v12, v15 offset1:1
	ds_write_b32 v35, v11 offset:13508
	s_waitcnt lgkmcnt(0)
	s_barrier
	v_add_u32_e32 v58, 0x800, v71
	v_add_u32_e32 v73, 0x1400, v71
	;; [unrolled: 1-line block ×8, first 2 shown]
	ds_read_b32 v30, v71 offset:1000
	v_sub_u32_e32 v61, v62, v86
	v_add_u32_e32 v89, 0x1000, v71
	v_add_u32_e32 v100, 0x1c00, v71
	;; [unrolled: 1-line block ×4, first 2 shown]
	ds_read_b32 v26, v67
	ds_read_b32 v28, v61
	ds_read_b32 v32, v71 offset:14500
	ds_read2_b32 v[4:5], v71 offset1:125
	ds_read2_b32 v[0:1], v58 offset0:113 offset1:238
	ds_read2_b32 v[102:103], v73 offset0:95 offset1:220
	;; [unrolled: 1-line block ×12, first 2 shown]
	s_waitcnt lgkmcnt(0)
	s_barrier
	ds_write2_b32 v43, v124, v125 offset1:1
	v_mul_f32_e32 v125, 0.5, v87
	v_mov_b32_e32 v124, v63
	v_mov_b32_e32 v2, v63
	v_pk_add_f32 v[126:127], v[66:67], v[2:3] op_sel_hi:[0,1]
	v_pk_add_f32 v[124:125], v[66:67], v[124:125] op_sel_hi:[0,1] neg_lo:[0,1] neg_hi:[0,1]
	v_mov_b32_e32 v54, v55
	v_mul_f32_e32 v55, 0x3f5db3d7, v84
	v_mov_b32_e32 v127, v125
	v_pk_add_f32 v[54:55], v[54:55], v[126:127]
	ds_write2_b32 v49, v54, v55 offset1:1
	v_mul_f32_e32 v55, 0.5, v83
	v_mov_b32_e32 v54, v59
	v_mov_b32_e32 v2, v59
	v_pk_add_f32 v[82:83], v[68:69], v[2:3] op_sel_hi:[0,1]
	v_pk_add_f32 v[54:55], v[68:69], v[54:55] op_sel_hi:[0,1] neg_lo:[0,1] neg_hi:[0,1]
	v_mov_b32_e32 v52, v53
	v_mul_f32_e32 v53, 0x3f5db3d7, v78
	v_mov_b32_e32 v83, v55
	v_pk_add_f32 v[52:53], v[52:53], v[82:83]
	v_fmac_f32_e32 v55, 0xbf5db3d7, v78
	ds_write2_b32 v35, v52, v53 offset1:1
	ds_write_b32 v35, v55 offset:8
	v_mul_f32_e32 v53, 0.5, v77
	v_mov_b32_e32 v52, v47
	v_mov_b32_e32 v2, v47
	v_pk_add_f32 v[46:47], v[64:65], v[2:3] op_sel_hi:[0,1]
	v_pk_add_f32 v[52:53], v[64:65], v[52:53] op_sel_hi:[0,1] neg_lo:[0,1] neg_hi:[0,1]
	v_mov_b32_e32 v44, v45
	v_mul_f32_e32 v45, 0x3f5db3d7, v72
	v_mov_b32_e32 v47, v53
	v_pk_add_f32 v[44:45], v[44:45], v[46:47]
	v_mul_f32_e32 v47, 0.5, v75
	v_mov_b32_e32 v46, v41
	v_mov_b32_e32 v2, v41
	v_fmac_f32_e32 v123, 0xbf5db3d7, v80
	v_fmac_f32_e32 v125, 0xbf5db3d7, v84
	v_pk_add_f32 v[82:83], v[60:61], v[2:3] op_sel_hi:[0,1]
	v_pk_add_f32 v[46:47], v[60:61], v[46:47] op_sel_hi:[0,1] neg_lo:[0,1] neg_hi:[0,1]
	ds_write_b32 v35, v123 offset:1508
	ds_write_b32 v35, v125 offset:3008
	ds_write2_b32 v62, v44, v45 offset1:1
	v_mul_f32_e32 v45, 0x3f5db3d7, v70
	v_mov_b32_e32 v44, v39
	v_mov_b32_e32 v83, v47
	v_fmac_f32_e32 v53, 0xbf5db3d7, v72
	v_mul_f32_e32 v55, 0.5, v93
	v_mul_f32_e32 v57, 0.5, v101
	v_pk_add_f32 v[44:45], v[44:45], v[82:83]
	v_fmac_f32_e32 v47, 0xbf5db3d7, v70
	v_mov_b32_e32 v2, v33
	v_mov_b32_e32 v54, v33
	ds_write_b32 v62, v53 offset:8
	ds_write2_b32 v65, v44, v45 offset1:1
	ds_write_b32 v65, v47 offset:8
	v_pk_add_f32 v[44:45], v[56:57], v[2:3] op_sel_hi:[0,1]
	v_pk_add_f32 v[46:47], v[56:57], v[54:55] op_sel_hi:[0,1] neg_lo:[0,1] neg_hi:[0,1]
	v_mul_f32_e32 v53, 0x3f5db3d7, v88
	v_mov_b32_e32 v45, v47
	v_mov_b32_e32 v52, v37
	v_mul_f32_e32 v51, 0x3f5db3d7, v90
	v_pk_add_f32 v[44:45], v[52:53], v[44:45]
	v_fmac_f32_e32 v47, 0xbf5db3d7, v88
	v_mov_b32_e32 v2, v29
	v_mov_b32_e32 v56, v29
	ds_write2_b32 v38, v44, v45 offset1:1
	ds_write_b32 v35, v47 offset:7508
	v_pk_add_f32 v[44:45], v[50:51], v[2:3] op_sel_hi:[0,1]
	v_pk_add_f32 v[46:47], v[50:51], v[56:57] op_sel_hi:[0,1] neg_lo:[0,1] neg_hi:[0,1]
	v_mov_b32_e32 v45, v47
	v_mov_b32_e32 v50, v31
	v_mul_f32_e32 v115, 0.5, v115
	v_mul_f32_e32 v49, 0.5, v121
	v_pk_add_f32 v[44:45], v[50:51], v[44:45]
	v_mov_b32_e32 v2, v27
	v_mov_b32_e32 v114, v27
	v_fmac_f32_e32 v47, 0xbf5db3d7, v90
	ds_write2_b32 v36, v44, v45 offset1:1
	ds_write_b32 v35, v47 offset:9008
	v_pk_add_f32 v[36:37], v[48:49], v[2:3] op_sel_hi:[0,1]
	v_pk_add_f32 v[44:45], v[48:49], v[114:115] op_sel_hi:[0,1] neg_lo:[0,1] neg_hi:[0,1]
	v_mul_f32_e32 v39, 0x3f5db3d7, v98
	v_mov_b32_e32 v37, v45
	v_mov_b32_e32 v38, v25
	v_pk_add_f32 v[36:37], v[38:39], v[36:37]
	v_mul_f32_e32 v41, 0.5, v119
	v_mul_f32_e32 v43, 0x3f5db3d7, v110
	v_fmac_f32_e32 v45, 0xbf5db3d7, v98
	ds_write2_b32 v40, v36, v37 offset1:1
	ds_write_b32 v35, v45 offset:10508
	v_mov_b32_e32 v2, v23
	v_mov_b32_e32 v40, v23
	v_pk_add_f32 v[22:23], v[42:43], v[2:3] op_sel_hi:[0,1]
	v_pk_add_f32 v[36:37], v[42:43], v[40:41] op_sel_hi:[0,1] neg_lo:[0,1] neg_hi:[0,1]
	v_mov_b32_e32 v23, v37
	v_mov_b32_e32 v42, v21
	v_pk_add_f32 v[22:23], v[42:43], v[22:23]
	v_mov_b32_e32 v2, v9
	v_mov_b32_e32 v48, v9
	v_fmac_f32_e32 v37, 0xbf5db3d7, v110
	ds_write2_b32 v24, v22, v23 offset1:1
	ds_write_b32 v35, v37 offset:12008
	v_pk_add_f32 v[8:9], v[34:35], v[2:3] op_sel_hi:[0,1]
	v_pk_add_f32 v[22:23], v[34:35], v[48:49] op_sel_hi:[0,1] neg_lo:[0,1] neg_hi:[0,1]
	v_mul_f32_e32 v83, 0x3f5db3d7, v116
	v_mov_b32_e32 v9, v23
	v_mov_b32_e32 v82, v3
	v_pk_add_f32 v[2:3], v[82:83], v[8:9]
	s_movk_i32 s2, 0xab
	v_fmac_f32_e32 v23, 0xbf5db3d7, v116
	ds_write2_b32 v20, v2, v3 offset1:1
	ds_write_b32 v35, v23 offset:13508
	v_mul_lo_u16_sdwa v2, v18, s2 dst_sel:DWORD dst_unused:UNUSED_PAD src0_sel:BYTE_0 src1_sel:DWORD
	v_lshrrev_b16_e32 v68, 9, v2
	v_mul_lo_u16_e32 v2, 3, v68
	v_sub_u16_e32 v64, v18, v2
	v_mov_b32_e32 v36, 5
	v_lshlrev_b32_sdwa v2, v36, v64 dst_sel:DWORD dst_unused:UNUSED_PAD src0_sel:DWORD src1_sel:BYTE_0
	v_add_u32_e32 v59, 0x7d, v18
	s_waitcnt lgkmcnt(0)
	s_barrier
	global_load_dwordx4 v[40:43], v2, s[4:5]
	global_load_dwordx4 v[44:47], v2, s[4:5] offset:16
	v_mul_lo_u16_sdwa v2, v59, s2 dst_sel:DWORD dst_unused:UNUSED_PAD src0_sel:BYTE_0 src1_sel:DWORD
	v_lshrrev_b16_e32 v70, 9, v2
	v_mul_lo_u16_e32 v2, 3, v70
	v_sub_u16_e32 v66, v59, v2
	v_lshlrev_b32_sdwa v2, v36, v66 dst_sel:DWORD dst_unused:UNUSED_PAD src0_sel:DWORD src1_sel:BYTE_0
	v_add_u32_e32 v63, 0xfa, v18
	s_mov_b32 s2, 0xaaab
	global_load_dwordx4 v[48:51], v2, s[4:5]
	global_load_dwordx4 v[52:55], v2, s[4:5] offset:16
	v_mul_u32_u24_sdwa v2, v63, s2 dst_sel:DWORD dst_unused:UNUSED_PAD src0_sel:WORD_0 src1_sel:DWORD
	v_lshrrev_b32_e32 v72, 17, v2
	v_mul_lo_u16_e32 v2, 3, v72
	v_sub_u16_e32 v75, v63, v2
	v_lshlrev_b32_e32 v2, 5, v75
	v_add_u32_e32 v90, 0x271, v18
	global_load_dwordx4 v[114:117], v2, s[4:5]
	global_load_dwordx4 v[118:121], v2, s[4:5] offset:16
	v_mul_u32_u24_sdwa v2, v90, s2 dst_sel:DWORD dst_unused:UNUSED_PAD src0_sel:WORD_0 src1_sel:DWORD
	v_lshrrev_b32_e32 v27, 17, v2
	v_mul_lo_u16_e32 v2, 3, v27
	v_sub_u16_e32 v77, v90, v2
	v_lshlrev_b32_e32 v2, 5, v77
	global_load_dwordx4 v[122:125], v2, s[4:5]
	global_load_dwordx4 v[126:129], v2, s[4:5] offset:16
	ds_read2_b32 v[8:9], v71 offset1:125
	ds_read2_b32 v[2:3], v58 offset0:113 offset1:238
	ds_read2_b32 v[34:35], v73 offset0:95 offset1:220
	ds_read2_b32 v[56:57], v76 offset0:77 offset1:202
	ds_read2_b32 v[82:83], v81 offset0:59 offset1:184
	ds_read2_b32 v[130:131], v69 offset0:107 offset1:232
	ds_read2_b32 v[132:133], v74 offset0:89 offset1:214
	ds_read2_b32 v[134:135], v79 offset0:71 offset1:196
	ds_read2_b32 v[136:137], v85 offset0:53 offset1:178
	ds_read_b32 v38, v71 offset:1000
	ds_read2_b32 v[22:23], v89 offset0:101 offset1:226
	ds_read2_b32 v[20:21], v100 offset0:83 offset1:208
	v_mul_u32_u24_e32 v68, 60, v68
	v_lshlrev_b32_e32 v75, 2, v75
	s_movk_i32 s3, 0x89
	s_mov_b32 s6, 0x8889
	s_movk_i32 s11, 0x4a
	s_movk_i32 s7, 0xbb8
	;; [unrolled: 1-line block ×4, first 2 shown]
	s_mov_b32 s8, 0x3f167918
	s_waitcnt vmcnt(7) lgkmcnt(10)
	v_mul_f32_e32 v31, v3, v41
	v_fmac_f32_e32 v31, v1, v40
	v_mul_f32_e32 v1, v1, v41
	v_fma_f32 v33, v3, v40, -v1
	v_mul_f32_e32 v1, v103, v43
	s_waitcnt lgkmcnt(9)
	v_mul_f32_e32 v37, v35, v43
	v_fma_f32 v35, v35, v42, -v1
	s_waitcnt vmcnt(6)
	v_mul_f32_e32 v1, v97, v45
	v_fmac_f32_e32 v37, v103, v42
	s_waitcnt lgkmcnt(8)
	v_mul_f32_e32 v41, v57, v45
	v_fma_f32 v42, v57, v44, -v1
	v_mul_f32_e32 v1, v95, v47
	v_fmac_f32_e32 v41, v97, v44
	s_waitcnt lgkmcnt(7)
	v_mul_f32_e32 v43, v83, v47
	v_fma_f32 v44, v83, v46, -v1
	s_waitcnt vmcnt(5)
	v_mul_f32_e32 v1, v112, v49
	v_fmac_f32_e32 v43, v95, v46
	s_waitcnt lgkmcnt(6)
	v_fma_f32 v93, v130, v48, -v1
	s_waitcnt lgkmcnt(5)
	v_mul_f32_e32 v95, v132, v51
	v_mul_f32_e32 v1, v108, v51
	v_fmac_f32_e32 v95, v108, v50
	v_fma_f32 v97, v132, v50, -v1
	s_waitcnt vmcnt(4) lgkmcnt(4)
	v_mul_f32_e32 v50, v134, v53
	v_mul_f32_e32 v1, v106, v53
	v_fmac_f32_e32 v50, v106, v52
	v_fma_f32 v98, v134, v52, -v1
	s_waitcnt lgkmcnt(3)
	v_mul_f32_e32 v52, v136, v55
	v_mul_f32_e32 v1, v104, v55
	s_waitcnt vmcnt(3)
	v_mul_f32_e32 v3, v113, v115
	v_fmac_f32_e32 v52, v104, v54
	v_fma_f32 v101, v136, v54, -v1
	ds_read2_b32 v[24:25], v91 offset0:65 offset1:190
	ds_read_b32 v1, v67
	v_fma_f32 v104, v131, v114, -v3
	ds_read_b32 v3, v61
	ds_read_b32 v29, v71 offset:14500
	v_mul_f32_e32 v106, v133, v117
	v_mul_f32_e32 v39, v109, v117
	v_fmac_f32_e32 v106, v109, v116
	v_fma_f32 v108, v133, v116, -v39
	s_waitcnt vmcnt(2)
	v_mul_f32_e32 v109, v135, v119
	v_mul_f32_e32 v39, v107, v119
	v_fmac_f32_e32 v109, v107, v118
	v_fma_f32 v107, v135, v118, -v39
	v_mul_f32_e32 v110, v137, v121
	v_mul_f32_e32 v39, v105, v121
	v_fmac_f32_e32 v110, v105, v120
	v_fma_f32 v105, v137, v120, -v39
	s_waitcnt vmcnt(1)
	v_mul_f32_e32 v39, v102, v123
	v_mul_f32_e32 v57, v34, v123
	v_fma_f32 v60, v34, v122, -v39
	v_mul_f32_e32 v34, v96, v125
	s_waitcnt vmcnt(0) lgkmcnt(0)
	v_mul_f32_e32 v87, v29, v129
	v_fma_f32 v80, v56, v124, -v34
	v_mul_f32_e32 v34, v94, v127
	v_fmac_f32_e32 v87, v32, v128
	v_mul_f32_e32 v32, v32, v129
	v_mul_f32_e32 v84, v82, v127
	v_fma_f32 v78, v82, v126, -v34
	v_fma_f32 v82, v29, v128, -v32
	v_add_f32_e32 v29, v4, v31
	v_add_f32_e32 v29, v29, v37
	;; [unrolled: 1-line block ×5, first 2 shown]
	v_fma_f32 v29, -0.5, v29, v4
	v_sub_f32_e32 v32, v33, v44
	v_fmamk_f32 v55, v32, 0xbf737871, v29
	v_sub_f32_e32 v34, v35, v42
	v_sub_f32_e32 v39, v31, v37
	;; [unrolled: 1-line block ×3, first 2 shown]
	v_fmac_f32_e32 v29, 0x3f737871, v32
	v_fmac_f32_e32 v55, 0xbf167918, v34
	v_add_f32_e32 v39, v39, v40
	v_fmac_f32_e32 v29, 0x3f167918, v34
	v_fmac_f32_e32 v55, 0x3e9e377a, v39
	v_fmac_f32_e32 v29, 0x3e9e377a, v39
	v_add_f32_e32 v39, v31, v43
	v_fma_f32 v39, -0.5, v39, v4
	v_fmamk_f32 v40, v34, 0x3f737871, v39
	v_sub_f32_e32 v4, v37, v31
	v_sub_f32_e32 v45, v41, v43
	v_fmac_f32_e32 v39, 0xbf737871, v34
	v_fmac_f32_e32 v40, 0xbf167918, v32
	v_add_f32_e32 v4, v4, v45
	v_fmac_f32_e32 v39, 0x3f167918, v32
	v_fmac_f32_e32 v40, 0x3e9e377a, v4
	;; [unrolled: 1-line block ×3, first 2 shown]
	v_add_f32_e32 v4, v8, v33
	v_add_f32_e32 v4, v4, v35
	v_mul_f32_e32 v88, v130, v49
	v_add_f32_e32 v4, v4, v42
	v_fmac_f32_e32 v88, v112, v48
	v_add_f32_e32 v48, v4, v44
	v_add_f32_e32 v4, v35, v42
	v_fma_f32 v45, -0.5, v4, v8
	v_sub_f32_e32 v4, v31, v43
	v_fmamk_f32 v49, v4, 0x3f737871, v45
	v_sub_f32_e32 v31, v37, v41
	v_sub_f32_e32 v32, v33, v35
	v_sub_f32_e32 v34, v44, v42
	v_fmac_f32_e32 v45, 0xbf737871, v4
	v_fmac_f32_e32 v49, 0x3f167918, v31
	v_add_f32_e32 v32, v32, v34
	v_fmac_f32_e32 v45, 0xbf167918, v31
	v_fmac_f32_e32 v49, 0x3e9e377a, v32
	;; [unrolled: 1-line block ×3, first 2 shown]
	v_add_f32_e32 v32, v33, v44
	v_fma_f32 v46, -0.5, v32, v8
	v_fmamk_f32 v47, v31, 0xbf737871, v46
	v_fmac_f32_e32 v46, 0x3f737871, v31
	v_fmac_f32_e32 v47, 0x3f167918, v4
	;; [unrolled: 1-line block ×3, first 2 shown]
	v_add_f32_e32 v4, v5, v88
	v_add_f32_e32 v4, v4, v95
	;; [unrolled: 1-line block ×3, first 2 shown]
	v_sub_f32_e32 v8, v35, v33
	v_sub_f32_e32 v32, v42, v44
	v_add_f32_e32 v35, v4, v52
	v_add_f32_e32 v4, v95, v50
	;; [unrolled: 1-line block ×3, first 2 shown]
	v_fma_f32 v31, -0.5, v4, v5
	v_sub_f32_e32 v4, v93, v101
	v_fmac_f32_e32 v47, 0x3e9e377a, v8
	v_fmac_f32_e32 v46, 0x3e9e377a, v8
	v_fmamk_f32 v37, v4, 0xbf737871, v31
	v_sub_f32_e32 v8, v97, v98
	v_sub_f32_e32 v32, v88, v95
	v_sub_f32_e32 v33, v52, v50
	v_fmac_f32_e32 v31, 0x3f737871, v4
	v_fmac_f32_e32 v37, 0xbf167918, v8
	v_add_f32_e32 v32, v32, v33
	v_fmac_f32_e32 v31, 0x3f167918, v8
	v_fmac_f32_e32 v37, 0x3e9e377a, v32
	;; [unrolled: 1-line block ×3, first 2 shown]
	v_add_f32_e32 v32, v88, v52
	v_fmac_f32_e32 v5, -0.5, v32
	v_fmamk_f32 v54, v8, 0x3f737871, v5
	v_fmac_f32_e32 v5, 0xbf737871, v8
	v_fmac_f32_e32 v54, 0xbf167918, v4
	;; [unrolled: 1-line block ×3, first 2 shown]
	v_add_f32_e32 v4, v9, v93
	v_add_f32_e32 v4, v4, v97
	;; [unrolled: 1-line block ×3, first 2 shown]
	v_sub_f32_e32 v32, v95, v88
	v_sub_f32_e32 v33, v50, v52
	v_add_f32_e32 v51, v4, v101
	v_add_f32_e32 v4, v97, v98
	;; [unrolled: 1-line block ×3, first 2 shown]
	v_fma_f32 v8, -0.5, v4, v9
	v_sub_f32_e32 v4, v88, v52
	v_fmac_f32_e32 v54, 0x3e9e377a, v32
	v_fmac_f32_e32 v5, 0x3e9e377a, v32
	v_fmamk_f32 v52, v4, 0x3f737871, v8
	v_sub_f32_e32 v32, v95, v50
	v_sub_f32_e32 v33, v93, v97
	;; [unrolled: 1-line block ×3, first 2 shown]
	v_fmac_f32_e32 v8, 0xbf737871, v4
	v_fmac_f32_e32 v52, 0x3f167918, v32
	v_add_f32_e32 v33, v33, v34
	v_fmac_f32_e32 v8, 0xbf167918, v32
	v_fmac_f32_e32 v52, 0x3e9e377a, v33
	v_fmac_f32_e32 v8, 0x3e9e377a, v33
	v_add_f32_e32 v33, v93, v101
	v_mul_f32_e32 v103, v131, v115
	v_fmac_f32_e32 v9, -0.5, v33
	v_fmac_f32_e32 v103, v113, v114
	v_fmamk_f32 v50, v32, 0xbf737871, v9
	v_fmac_f32_e32 v9, 0x3f737871, v32
	v_fmac_f32_e32 v50, 0x3f167918, v4
	v_fmac_f32_e32 v9, 0xbf167918, v4
	v_add_f32_e32 v4, v30, v103
	v_sub_f32_e32 v33, v97, v93
	v_sub_f32_e32 v34, v98, v101
	v_add_f32_e32 v4, v4, v106
	v_add_f32_e32 v33, v33, v34
	;; [unrolled: 1-line block ×3, first 2 shown]
	v_fmac_f32_e32 v50, 0x3e9e377a, v33
	v_fmac_f32_e32 v9, 0x3e9e377a, v33
	v_add_f32_e32 v33, v4, v110
	v_add_f32_e32 v4, v106, v109
	v_fma_f32 v4, -0.5, v4, v30
	v_sub_f32_e32 v41, v104, v105
	v_fmamk_f32 v34, v41, 0xbf737871, v4
	v_sub_f32_e32 v42, v108, v107
	v_sub_f32_e32 v32, v103, v106
	;; [unrolled: 1-line block ×3, first 2 shown]
	v_fmac_f32_e32 v4, 0x3f737871, v41
	v_fmac_f32_e32 v34, 0xbf167918, v42
	v_add_f32_e32 v32, v32, v43
	v_fmac_f32_e32 v4, 0x3f167918, v42
	v_fmac_f32_e32 v34, 0x3e9e377a, v32
	;; [unrolled: 1-line block ×3, first 2 shown]
	v_add_f32_e32 v32, v103, v110
	v_fmac_f32_e32 v30, -0.5, v32
	v_fmamk_f32 v32, v42, 0x3f737871, v30
	v_sub_f32_e32 v43, v106, v103
	v_sub_f32_e32 v44, v109, v110
	v_fmac_f32_e32 v30, 0xbf737871, v42
	v_fmac_f32_e32 v32, 0xbf167918, v41
	v_add_f32_e32 v43, v43, v44
	v_fmac_f32_e32 v30, 0x3f167918, v41
	v_add_f32_e32 v41, v38, v104
	v_sub_f32_e32 v44, v104, v108
	v_sub_f32_e32 v93, v105, v107
	v_fmac_f32_e32 v84, v94, v126
	v_add_f32_e32 v41, v41, v108
	v_add_f32_e32 v44, v44, v93
	v_sub_f32_e32 v93, v108, v104
	v_sub_f32_e32 v94, v107, v105
	v_add_f32_e32 v41, v41, v107
	v_add_f32_e32 v93, v93, v94
	v_mul_u32_u24_sdwa v94, v19, s2 dst_sel:DWORD dst_unused:UNUSED_PAD src0_sel:WORD_0 src1_sel:DWORD
	v_add_f32_e32 v42, v41, v105
	v_add_f32_e32 v41, v108, v107
	v_lshrrev_b32_e32 v97, 17, v94
	v_mul_f32_e32 v83, v56, v125
	v_fma_f32 v41, -0.5, v41, v38
	v_sub_f32_e32 v56, v103, v110
	v_mul_lo_u16_e32 v94, 3, v97
	v_fmac_f32_e32 v32, 0x3e9e377a, v43
	v_fmac_f32_e32 v30, 0x3e9e377a, v43
	v_fmamk_f32 v43, v56, 0x3f737871, v41
	v_sub_f32_e32 v88, v106, v109
	v_fmac_f32_e32 v41, 0xbf737871, v56
	v_sub_u16_e32 v101, v19, v94
	v_fmac_f32_e32 v43, 0x3f167918, v88
	v_fmac_f32_e32 v41, 0xbf167918, v88
	v_lshlrev_b32_e32 v94, 5, v101
	v_fmac_f32_e32 v57, v102, v122
	v_fmac_f32_e32 v43, 0x3e9e377a, v44
	;; [unrolled: 1-line block ×3, first 2 shown]
	v_add_f32_e32 v44, v104, v105
	global_load_dwordx4 v[102:105], v94, s[4:5] offset:16
	global_load_dwordx4 v[106:109], v94, s[4:5]
	v_mul_u32_u24_sdwa v94, v92, s2 dst_sel:DWORD dst_unused:UNUSED_PAD src0_sel:WORD_0 src1_sel:DWORD
	v_lshrrev_b32_e32 v98, 17, v94
	v_mul_lo_u16_e32 v94, 3, v98
	v_sub_u16_e32 v110, v92, v94
	v_lshlrev_b32_e32 v94, 5, v110
	global_load_dwordx4 v[112:115], v94, s[4:5] offset:16
	global_load_dwordx4 v[116:119], v94, s[4:5]
	v_fmac_f32_e32 v38, -0.5, v44
	v_fmamk_f32 v44, v88, 0xbf737871, v38
	v_fmac_f32_e32 v38, 0x3f737871, v88
	v_fmac_f32_e32 v83, v96, v124
	;; [unrolled: 1-line block ×4, first 2 shown]
	v_add_f32_e32 v56, v0, v57
	v_add_f32_e32 v56, v56, v83
	;; [unrolled: 1-line block ×3, first 2 shown]
	v_fmac_f32_e32 v44, 0x3e9e377a, v93
	v_fmac_f32_e32 v38, 0x3e9e377a, v93
	v_add_f32_e32 v93, v56, v87
	v_add_f32_e32 v56, v83, v84
	v_fma_f32 v88, -0.5, v56, v0
	v_sub_f32_e32 v56, v60, v82
	v_fmamk_f32 v94, v56, 0xbf737871, v88
	v_sub_f32_e32 v96, v80, v78
	v_sub_f32_e32 v95, v57, v83
	;; [unrolled: 1-line block ×3, first 2 shown]
	v_fmac_f32_e32 v88, 0x3f737871, v56
	v_fmac_f32_e32 v94, 0xbf167918, v96
	v_add_f32_e32 v95, v95, v120
	v_fmac_f32_e32 v88, 0x3f167918, v96
	v_fmac_f32_e32 v94, 0x3e9e377a, v95
	;; [unrolled: 1-line block ×3, first 2 shown]
	v_add_f32_e32 v95, v57, v87
	v_fmac_f32_e32 v0, -0.5, v95
	v_sub_f32_e32 v95, v83, v57
	v_sub_f32_e32 v120, v84, v87
	v_add_f32_e32 v120, v95, v120
	v_fmamk_f32 v95, v96, 0x3f737871, v0
	v_fmac_f32_e32 v0, 0xbf737871, v96
	v_fmac_f32_e32 v95, 0xbf167918, v56
	;; [unrolled: 1-line block ×3, first 2 shown]
	v_add_f32_e32 v56, v80, v78
	v_fmac_f32_e32 v95, 0x3e9e377a, v120
	v_fmac_f32_e32 v0, 0x3e9e377a, v120
	v_fma_f32 v56, -0.5, v56, v2
	v_sub_f32_e32 v87, v57, v87
	v_sub_f32_e32 v83, v83, v84
	v_sub_f32_e32 v84, v60, v80
	v_sub_f32_e32 v120, v82, v78
	v_fmamk_f32 v57, v87, 0x3f737871, v56
	v_add_f32_e32 v84, v84, v120
	v_fmac_f32_e32 v56, 0xbf737871, v87
	ds_read2_b32 v[120:121], v99 offset0:47 offset1:172
	v_fmac_f32_e32 v57, 0x3f167918, v83
	v_fmac_f32_e32 v56, 0xbf167918, v83
	v_add_f32_e32 v96, v2, v60
	v_fmac_f32_e32 v57, 0x3e9e377a, v84
	v_fmac_f32_e32 v56, 0x3e9e377a, v84
	v_add_f32_e32 v84, v60, v82
	v_fmac_f32_e32 v2, -0.5, v84
	v_add_f32_e32 v84, v96, v80
	v_sub_f32_e32 v80, v80, v60
	v_mov_b32_e32 v60, 2
	v_lshlrev_b32_sdwa v122, v60, v64 dst_sel:DWORD dst_unused:UNUSED_PAD src0_sel:DWORD src1_sel:BYTE_0
	v_lshlrev_b32_sdwa v123, v60, v66 dst_sel:DWORD dst_unused:UNUSED_PAD src0_sel:DWORD src1_sel:BYTE_0
	v_fmamk_f32 v66, v83, 0xbf737871, v2
	v_fmac_f32_e32 v2, 0x3f737871, v83
	v_lshlrev_b32_e32 v96, 2, v77
	v_add_f32_e32 v64, v84, v78
	v_sub_f32_e32 v77, v78, v82
	v_fmac_f32_e32 v66, 0x3f167918, v87
	v_fmac_f32_e32 v2, 0xbf167918, v87
	v_add3_u32 v87, 0, v68, v122
	v_mul_u32_u24_e32 v68, 60, v70
	v_add3_u32 v70, 0, v68, v123
	v_mul_u32_u24_e32 v68, 60, v72
	v_add_f32_e32 v77, v80, v77
	v_add_f32_e32 v64, v64, v82
	v_fmac_f32_e32 v66, 0x3e9e377a, v77
	s_waitcnt vmcnt(3) lgkmcnt(0)
	v_mul_f32_e32 v78, v120, v105
	s_waitcnt vmcnt(2)
	v_mul_f32_e32 v72, v22, v107
	v_fmac_f32_e32 v78, v6, v104
	v_mul_f32_e32 v6, v6, v105
	v_fmac_f32_e32 v72, v14, v106
	v_mul_f32_e32 v14, v14, v107
	v_fma_f32 v83, v120, v104, -v6
	s_waitcnt vmcnt(1)
	v_mul_f32_e32 v104, v121, v115
	v_fma_f32 v14, v22, v106, -v14
	v_mul_f32_e32 v22, v20, v109
	v_mul_f32_e32 v80, v24, v103
	v_fmac_f32_e32 v104, v7, v114
	v_mul_f32_e32 v7, v7, v115
	v_fmac_f32_e32 v22, v12, v108
	v_fmac_f32_e32 v80, v10, v102
	v_mul_f32_e32 v10, v10, v103
	v_fma_f32 v105, v121, v114, -v7
	v_add_f32_e32 v7, v28, v72
	v_fma_f32 v24, v24, v102, -v10
	s_waitcnt vmcnt(0)
	v_mul_f32_e32 v10, v15, v117
	v_add_f32_e32 v7, v7, v22
	v_mul_f32_e32 v84, v23, v117
	v_fma_f32 v23, v23, v116, -v10
	v_mul_f32_e32 v10, v13, v119
	v_add_f32_e32 v7, v7, v80
	v_mul_f32_e32 v12, v12, v109
	v_fmac_f32_e32 v84, v15, v116
	v_mul_f32_e32 v102, v21, v119
	v_fma_f32 v21, v21, v118, -v10
	v_mul_f32_e32 v10, v11, v113
	v_add_f32_e32 v15, v7, v78
	v_add_f32_e32 v7, v22, v80
	v_fma_f32 v82, v20, v108, -v12
	v_mul_f32_e32 v103, v25, v113
	v_fma_f32 v25, v25, v112, -v10
	v_fma_f32 v10, -0.5, v7, v28
	v_sub_f32_e32 v7, v14, v83
	v_fmac_f32_e32 v102, v13, v118
	v_fmac_f32_e32 v103, v11, v112
	v_fmamk_f32 v20, v7, 0xbf737871, v10
	v_sub_f32_e32 v11, v82, v24
	v_sub_f32_e32 v12, v72, v22
	;; [unrolled: 1-line block ×3, first 2 shown]
	v_fmac_f32_e32 v10, 0x3f737871, v7
	v_fmac_f32_e32 v20, 0xbf167918, v11
	v_add_f32_e32 v12, v12, v13
	v_fmac_f32_e32 v10, 0x3f167918, v11
	v_fmac_f32_e32 v20, 0x3e9e377a, v12
	v_fmac_f32_e32 v10, 0x3e9e377a, v12
	v_add_f32_e32 v12, v72, v78
	v_fmac_f32_e32 v28, -0.5, v12
	v_fmamk_f32 v12, v11, 0x3f737871, v28
	v_fmac_f32_e32 v28, 0xbf737871, v11
	v_fmac_f32_e32 v12, 0xbf167918, v7
	v_fmac_f32_e32 v28, 0x3f167918, v7
	v_add_f32_e32 v7, v3, v14
	v_add_f32_e32 v7, v7, v82
	;; [unrolled: 1-line block ×3, first 2 shown]
	v_fmac_f32_e32 v2, 0x3e9e377a, v77
	v_add3_u32 v68, 0, v68, v75
	v_sub_f32_e32 v13, v22, v72
	v_sub_f32_e32 v75, v80, v78
	v_add_f32_e32 v77, v7, v83
	v_add_f32_e32 v7, v82, v24
	;; [unrolled: 1-line block ×3, first 2 shown]
	v_fma_f32 v75, -0.5, v7, v3
	v_sub_f32_e32 v7, v72, v78
	v_fmac_f32_e32 v12, 0x3e9e377a, v13
	v_fmac_f32_e32 v28, 0x3e9e377a, v13
	v_fmamk_f32 v78, v7, 0x3f737871, v75
	v_sub_f32_e32 v11, v22, v80
	v_sub_f32_e32 v13, v14, v82
	;; [unrolled: 1-line block ×3, first 2 shown]
	v_fmac_f32_e32 v75, 0xbf737871, v7
	v_fmac_f32_e32 v78, 0x3f167918, v11
	v_add_f32_e32 v13, v13, v22
	v_fmac_f32_e32 v75, 0xbf167918, v11
	v_fmac_f32_e32 v78, 0x3e9e377a, v13
	;; [unrolled: 1-line block ×3, first 2 shown]
	v_add_f32_e32 v13, v14, v83
	v_fmac_f32_e32 v3, -0.5, v13
	v_fmamk_f32 v80, v11, 0xbf737871, v3
	v_fmac_f32_e32 v3, 0x3f737871, v11
	v_fmac_f32_e32 v80, 0x3f167918, v7
	;; [unrolled: 1-line block ×3, first 2 shown]
	v_add_f32_e32 v7, v26, v84
	v_sub_f32_e32 v13, v82, v14
	v_sub_f32_e32 v14, v24, v83
	v_add_f32_e32 v7, v7, v102
	v_add_f32_e32 v13, v13, v14
	;; [unrolled: 1-line block ×3, first 2 shown]
	v_fmac_f32_e32 v80, 0x3e9e377a, v13
	v_fmac_f32_e32 v3, 0x3e9e377a, v13
	v_add_f32_e32 v13, v7, v104
	v_add_f32_e32 v7, v102, v103
	v_fma_f32 v7, -0.5, v7, v26
	v_sub_f32_e32 v22, v23, v105
	v_fmamk_f32 v14, v22, 0xbf737871, v7
	v_sub_f32_e32 v24, v21, v25
	v_sub_f32_e32 v11, v84, v102
	;; [unrolled: 1-line block ×3, first 2 shown]
	v_fmac_f32_e32 v7, 0x3f737871, v22
	v_fmac_f32_e32 v14, 0xbf167918, v24
	v_add_f32_e32 v11, v11, v72
	v_fmac_f32_e32 v7, 0x3f167918, v24
	v_fmac_f32_e32 v14, 0x3e9e377a, v11
	;; [unrolled: 1-line block ×3, first 2 shown]
	v_add_f32_e32 v11, v84, v104
	v_fmac_f32_e32 v26, -0.5, v11
	v_fmamk_f32 v11, v24, 0x3f737871, v26
	v_fmac_f32_e32 v26, 0xbf737871, v24
	v_fmac_f32_e32 v11, 0xbf167918, v22
	;; [unrolled: 1-line block ×3, first 2 shown]
	v_add_f32_e32 v22, v1, v23
	v_add_f32_e32 v22, v22, v21
	v_sub_f32_e32 v72, v102, v84
	v_sub_f32_e32 v82, v103, v104
	v_add_f32_e32 v22, v22, v25
	v_add_f32_e32 v72, v72, v82
	;; [unrolled: 1-line block ×4, first 2 shown]
	v_fmac_f32_e32 v11, 0x3e9e377a, v72
	v_fmac_f32_e32 v26, 0x3e9e377a, v72
	v_fma_f32 v72, -0.5, v22, v1
	v_sub_f32_e32 v22, v84, v104
	s_mov_b32 s2, 0x5040100
	v_fmamk_f32 v83, v22, 0x3f737871, v72
	v_sub_f32_e32 v24, v102, v103
	v_sub_f32_e32 v84, v23, v21
	;; [unrolled: 1-line block ×3, first 2 shown]
	v_fmac_f32_e32 v72, 0xbf737871, v22
	s_barrier
	ds_write2_b32 v87, v53, v55 offset1:3
	ds_write2_b32 v87, v40, v39 offset0:6 offset1:9
	ds_write_b32 v87, v29 offset:48
	ds_write2_b32 v70, v35, v37 offset1:3
	ds_write2_b32 v70, v54, v5 offset0:6 offset1:9
	ds_write_b32 v70, v31 offset:48
	;; [unrolled: 3-line block ×3, first 2 shown]
	v_perm_b32 v4, v98, v97, s2
	v_fmac_f32_e32 v83, 0x3f167918, v24
	v_add_f32_e32 v84, v84, v102
	v_fmac_f32_e32 v72, 0xbf167918, v24
	v_pk_mul_lo_u16 v4, v4, 60 op_sel_hi:[1,0]
	v_lshlrev_b32_e32 v6, 2, v110
	v_fmac_f32_e32 v83, 0x3e9e377a, v84
	v_fmac_f32_e32 v72, 0x3e9e377a, v84
	v_add_f32_e32 v84, v23, v105
	v_and_b32_e32 v5, 0xfffc, v4
	v_lshrrev_b32_e32 v4, 16, v4
	v_lshlrev_b32_e32 v101, 2, v101
	v_fmac_f32_e32 v1, -0.5, v84
	v_add3_u32 v55, 0, v4, v6
	v_mul_u32_u24_e32 v4, 60, v27
	v_fmamk_f32 v84, v24, 0xbf737871, v1
	v_sub_f32_e32 v21, v21, v23
	v_sub_f32_e32 v23, v25, v105
	v_fmac_f32_e32 v1, 0x3f737871, v24
	v_add3_u32 v54, 0, v5, v101
	v_add3_u32 v96, 0, v4, v96
	v_fmac_f32_e32 v84, 0x3f167918, v22
	v_add_f32_e32 v21, v21, v23
	v_fmac_f32_e32 v1, 0xbf167918, v22
	ds_write2_b32 v54, v15, v20 offset1:3
	ds_write2_b32 v54, v12, v28 offset0:6 offset1:9
	ds_write_b32 v54, v10 offset:48
	ds_write2_b32 v55, v13, v14 offset1:3
	ds_write2_b32 v55, v11, v26 offset0:6 offset1:9
	ds_write_b32 v55, v7 offset:48
	;; [unrolled: 3-line block ×3, first 2 shown]
	v_mul_lo_u16_sdwa v0, v59, s3 dst_sel:DWORD dst_unused:UNUSED_PAD src0_sel:BYTE_0 src1_sel:DWORD
	v_fmac_f32_e32 v84, 0x3e9e377a, v21
	v_fmac_f32_e32 v1, 0x3e9e377a, v21
	s_waitcnt lgkmcnt(0)
	s_barrier
	ds_read2_b32 v[6:7], v71 offset1:125
	ds_read2_b32 v[4:5], v58 offset0:113 offset1:238
	ds_read2_b32 v[14:15], v73 offset0:95 offset1:220
	;; [unrolled: 1-line block ×8, first 2 shown]
	ds_read_b32 v40, v71 offset:1000
	ds_read2_b32 v[30:31], v89 offset0:101 offset1:226
	ds_read2_b32 v[26:27], v100 offset0:83 offset1:208
	;; [unrolled: 1-line block ×4, first 2 shown]
	ds_read_b32 v37, v67
	ds_read_b32 v39, v61
	ds_read_b32 v53, v71 offset:14500
	s_waitcnt lgkmcnt(0)
	s_barrier
	ds_write2_b32 v87, v48, v49 offset1:3
	ds_write2_b32 v87, v47, v46 offset0:6 offset1:9
	ds_write_b32 v87, v45 offset:48
	ds_write2_b32 v70, v51, v52 offset1:3
	ds_write2_b32 v70, v50, v9 offset0:6 offset1:9
	ds_write_b32 v70, v8 offset:48
	;; [unrolled: 3-line block ×6, first 2 shown]
	v_lshrrev_b16_e32 v38, 11, v0
	v_mul_lo_u16_e32 v0, 15, v38
	v_sub_u16_e32 v45, v59, v0
	v_lshlrev_b32_sdwa v8, v36, v45 dst_sel:DWORD dst_unused:UNUSED_PAD src0_sel:DWORD src1_sel:BYTE_0
	s_waitcnt lgkmcnt(0)
	s_barrier
	global_load_dwordx4 v[46:49], v8, s[4:5] offset:96
	global_load_dwordx4 v[0:3], v8, s[4:5] offset:112
	v_mul_u32_u24_sdwa v8, v63, s6 dst_sel:DWORD dst_unused:UNUSED_PAD src0_sel:WORD_0 src1_sel:DWORD
	v_lshrrev_b32_e32 v42, 19, v8
	v_mul_lo_u16_e32 v8, 15, v42
	v_sub_u16_e32 v52, v63, v8
	v_lshlrev_b32_e32 v8, 5, v52
	global_load_dwordx4 v[54:57], v8, s[4:5] offset:96
	global_load_dwordx4 v[94:97], v8, s[4:5] offset:112
	v_mul_u32_u24_sdwa v8, v19, s6 dst_sel:DWORD dst_unused:UNUSED_PAD src0_sel:WORD_0 src1_sel:DWORD
	v_lshrrev_b32_e32 v41, 19, v8
	v_mul_u32_u24_sdwa v9, v92, s6 dst_sel:DWORD dst_unused:UNUSED_PAD src0_sel:WORD_0 src1_sel:DWORD
	v_mul_lo_u16_sdwa v44, v18, s3 dst_sel:DWORD dst_unused:UNUSED_PAD src0_sel:BYTE_0 src1_sel:DWORD
	v_mul_lo_u16_e32 v8, 15, v41
	v_lshrrev_b32_e32 v43, 19, v9
	v_lshrrev_b16_e32 v44, 11, v44
	v_sub_u16_e32 v64, v19, v8
	v_mul_lo_u16_e32 v9, 15, v43
	v_mul_lo_u16_e32 v50, 15, v44
	v_lshlrev_b32_e32 v8, 5, v64
	v_sub_u16_e32 v66, v92, v9
	v_sub_u16_e32 v68, v18, v50
	global_load_dwordx4 v[102:105], v8, s[4:5] offset:96
	v_lshlrev_b32_e32 v9, 5, v66
	global_load_dwordx4 v[106:109], v9, s[4:5] offset:96
	v_lshlrev_b32_sdwa v36, v36, v68 dst_sel:DWORD dst_unused:UNUSED_PAD src0_sel:DWORD src1_sel:BYTE_0
	global_load_dwordx4 v[112:115], v36, s[4:5] offset:96
	global_load_dwordx4 v[116:119], v36, s[4:5] offset:112
	;; [unrolled: 1-line block ×4, first 2 shown]
	ds_read2_b32 v[50:51], v69 offset0:107 offset1:232
	ds_read2_b32 v[8:9], v71 offset1:125
	ds_read2_b32 v[82:83], v74 offset0:89 offset1:214
	ds_read2_b32 v[128:129], v79 offset0:71 offset1:196
	;; [unrolled: 1-line block ×3, first 2 shown]
	v_mul_u32_u24_e32 v44, 0x12c, v44
	s_movk_i32 s3, 0x12c
	s_waitcnt vmcnt(9) lgkmcnt(2)
	v_mul_f32_e32 v70, v82, v49
	s_waitcnt vmcnt(8) lgkmcnt(1)
	v_mul_f32_e32 v80, v128, v1
	v_fmac_f32_e32 v80, v28, v0
	v_mul_f32_e32 v1, v28, v1
	v_fmac_f32_e32 v70, v32, v48
	v_mul_f32_e32 v32, v32, v49
	s_waitcnt vmcnt(7)
	v_mul_f32_e32 v28, v35, v55
	v_fma_f32 v101, v51, v54, -v28
	v_mul_f32_e32 v28, v33, v57
	v_fma_f32 v132, v83, v56, -v28
	v_mul_u32_u24_sdwa v28, v90, s6 dst_sel:DWORD dst_unused:UNUSED_PAD src0_sel:WORD_0 src1_sel:DWORD
	v_lshrrev_b32_e32 v28, 19, v28
	v_mul_f32_e32 v36, v50, v47
	v_fma_f32 v78, v82, v48, -v32
	v_mul_lo_u16_e32 v32, 15, v28
	v_fmac_f32_e32 v36, v34, v46
	v_mul_f32_e32 v34, v34, v47
	v_sub_u16_e32 v72, v90, v32
	v_fma_f32 v77, v50, v46, -v34
	v_mul_f32_e32 v98, v51, v55
	v_mul_f32_e32 v110, v83, v57
	v_lshlrev_b32_e32 v50, 5, v72
	v_fmac_f32_e32 v98, v35, v54
	v_fmac_f32_e32 v110, v33, v56
	global_load_dwordx4 v[32:35], v50, s[4:5] offset:112
	global_load_dwordx4 v[46:49], v50, s[4:5] offset:96
	v_fma_f32 v84, v128, v0, -v1
	s_waitcnt lgkmcnt(0)
	v_mul_f32_e32 v75, v130, v3
	v_mul_f32_e32 v0, v24, v3
	v_fmac_f32_e32 v75, v24, v2
	v_fma_f32 v87, v130, v2, -v0
	s_waitcnt vmcnt(8)
	v_mul_f32_e32 v2, v29, v95
	ds_read2_b32 v[0:1], v58 offset0:113 offset1:238
	ds_read2_b32 v[50:51], v73 offset0:95 offset1:220
	v_mul_f32_e32 v128, v129, v95
	v_fma_f32 v129, v129, v94, -v2
	ds_read2_b32 v[2:3], v89 offset0:101 offset1:226
	v_mul_f32_e32 v130, v131, v97
	v_mul_f32_e32 v24, v25, v97
	v_fmac_f32_e32 v130, v25, v96
	v_fma_f32 v97, v131, v96, -v24
	ds_read2_b32 v[24:25], v100 offset0:83 offset1:208
	v_fmac_f32_e32 v128, v29, v94
	s_waitcnt vmcnt(7) lgkmcnt(1)
	v_mul_f32_e32 v131, v2, v103
	v_mul_f32_e32 v29, v30, v103
	v_fmac_f32_e32 v131, v30, v102
	v_fma_f32 v102, v2, v102, -v29
	s_waitcnt lgkmcnt(0)
	v_mul_f32_e32 v103, v24, v105
	v_mul_f32_e32 v2, v26, v105
	v_fmac_f32_e32 v103, v26, v104
	v_fma_f32 v104, v24, v104, -v2
	ds_read2_b32 v[54:55], v76 offset0:77 offset1:202
	ds_read2_b32 v[56:57], v81 offset0:59 offset1:184
	s_waitcnt vmcnt(6)
	v_mul_f32_e32 v105, v3, v107
	v_mul_f32_e32 v24, v31, v107
	v_fmac_f32_e32 v105, v31, v106
	v_fma_f32 v106, v3, v106, -v24
	v_mul_f32_e32 v107, v25, v109
	v_mul_f32_e32 v3, v27, v109
	v_fmac_f32_e32 v107, v27, v108
	ds_read2_b32 v[30:31], v91 offset0:65 offset1:190
	v_fma_f32 v108, v25, v108, -v3
	ds_read2_b32 v[82:83], v99 offset0:47 offset1:172
	s_waitcnt vmcnt(5)
	v_mul_f32_e32 v88, v1, v113
	v_mul_f32_e32 v3, v5, v113
	v_fmac_f32_e32 v88, v5, v112
	v_fma_f32 v5, v1, v112, -v3
	v_mul_f32_e32 v95, v51, v115
	v_mul_f32_e32 v1, v15, v115
	v_fmac_f32_e32 v95, v15, v114
	v_fma_f32 v15, v51, v114, -v1
	s_waitcnt vmcnt(4) lgkmcnt(3)
	v_mul_f32_e32 v51, v55, v117
	v_mul_f32_e32 v1, v13, v117
	v_fmac_f32_e32 v51, v13, v116
	v_fma_f32 v13, v55, v116, -v1
	s_waitcnt lgkmcnt(2)
	v_mul_f32_e32 v55, v57, v119
	v_mul_f32_e32 v1, v11, v119
	v_fmac_f32_e32 v55, v11, v118
	v_fma_f32 v11, v57, v118, -v1
	s_waitcnt vmcnt(3)
	v_mul_f32_e32 v1, v22, v121
	s_waitcnt lgkmcnt(1)
	v_fma_f32 v112, v30, v120, -v1
	s_waitcnt lgkmcnt(0)
	v_mul_f32_e32 v113, v82, v123
	v_mul_f32_e32 v1, v20, v123
	ds_read_b32 v2, v71 offset:1000
	v_fmac_f32_e32 v113, v20, v122
	v_fma_f32 v114, v82, v122, -v1
	ds_read_b32 v1, v67
	ds_read_b32 v3, v61
	ds_read_b32 v20, v71 offset:14500
	v_mul_f32_e32 v109, v30, v121
	v_fmac_f32_e32 v109, v22, v120
	v_lshlrev_b32_e32 v26, 2, v52
	s_waitcnt vmcnt(2)
	v_mul_f32_e32 v52, v31, v125
	v_mul_f32_e32 v22, v23, v125
	v_fmac_f32_e32 v52, v23, v124
	v_fma_f32 v115, v31, v124, -v22
	v_lshlrev_b32_e32 v24, 2, v66
	v_lshlrev_b32_sdwa v29, v60, v68 dst_sel:DWORD dst_unused:UNUSED_PAD src0_sel:DWORD src1_sel:BYTE_0
	v_lshlrev_b32_e32 v25, 2, v64
	v_lshlrev_b32_sdwa v27, v60, v45 dst_sel:DWORD dst_unused:UNUSED_PAD src0_sel:DWORD src1_sel:BYTE_0
	v_lshlrev_b32_e32 v22, 2, v72
	v_mul_f32_e32 v116, v83, v127
	v_fmac_f32_e32 v116, v21, v126
	v_mul_f32_e32 v21, v21, v127
	v_fma_f32 v117, v83, v126, -v21
	v_sub_f32_e32 v21, v103, v109
	s_waitcnt lgkmcnt(0)
	s_barrier
	s_waitcnt vmcnt(1)
	v_mul_f32_e32 v122, v56, v33
	v_fmac_f32_e32 v122, v10, v32
	v_mul_f32_e32 v10, v10, v33
	v_fma_f32 v123, v56, v32, -v10
	v_mul_f32_e32 v10, v53, v35
	v_fma_f32 v124, v20, v34, -v10
	v_add_f32_e32 v10, v6, v88
	v_add_f32_e32 v10, v10, v95
	;; [unrolled: 1-line block ×3, first 2 shown]
	s_waitcnt vmcnt(0)
	v_mul_f32_e32 v118, v50, v47
	v_mul_f32_e32 v120, v54, v49
	v_add_f32_e32 v30, v10, v55
	v_add_f32_e32 v10, v95, v51
	v_fmac_f32_e32 v118, v14, v46
	v_mul_f32_e32 v14, v14, v47
	v_fmac_f32_e32 v120, v12, v48
	v_mul_f32_e32 v12, v12, v49
	v_fma_f32 v23, -0.5, v10, v6
	v_sub_f32_e32 v10, v5, v11
	v_fma_f32 v119, v50, v46, -v14
	v_fma_f32 v121, v54, v48, -v12
	v_mul_f32_e32 v54, v20, v35
	v_fmamk_f32 v31, v10, 0xbf737871, v23
	v_sub_f32_e32 v12, v15, v13
	v_sub_f32_e32 v14, v88, v95
	;; [unrolled: 1-line block ×3, first 2 shown]
	v_fmac_f32_e32 v23, 0x3f737871, v10
	v_fmac_f32_e32 v31, 0xbf167918, v12
	v_add_f32_e32 v14, v14, v20
	v_fmac_f32_e32 v23, 0x3f167918, v12
	v_fmac_f32_e32 v31, 0x3e9e377a, v14
	v_fmac_f32_e32 v23, 0x3e9e377a, v14
	v_add_f32_e32 v14, v88, v55
	v_fma_f32 v93, -0.5, v14, v6
	v_fmamk_f32 v94, v12, 0x3f737871, v93
	v_sub_f32_e32 v6, v95, v88
	v_sub_f32_e32 v14, v51, v55
	v_fmac_f32_e32 v93, 0xbf737871, v12
	v_fmac_f32_e32 v94, 0xbf167918, v10
	v_add_f32_e32 v6, v6, v14
	v_fmac_f32_e32 v93, 0x3f167918, v10
	v_fmac_f32_e32 v94, 0x3e9e377a, v6
	;; [unrolled: 1-line block ×3, first 2 shown]
	v_add_f32_e32 v6, v8, v5
	v_add_f32_e32 v6, v6, v15
	;; [unrolled: 1-line block ×5, first 2 shown]
	v_fma_f32 v56, -0.5, v6, v8
	v_sub_f32_e32 v6, v88, v55
	v_fmamk_f32 v68, v6, 0x3f737871, v56
	v_sub_f32_e32 v10, v95, v51
	v_sub_f32_e32 v12, v5, v15
	;; [unrolled: 1-line block ×3, first 2 shown]
	v_fmac_f32_e32 v56, 0xbf737871, v6
	v_fmac_f32_e32 v68, 0x3f167918, v10
	v_add_f32_e32 v12, v12, v14
	v_fmac_f32_e32 v56, 0xbf167918, v10
	v_fmac_f32_e32 v68, 0x3e9e377a, v12
	;; [unrolled: 1-line block ×3, first 2 shown]
	v_add_f32_e32 v12, v5, v11
	v_fma_f32 v57, -0.5, v12, v8
	v_fmamk_f32 v64, v10, 0xbf737871, v57
	v_sub_f32_e32 v5, v15, v5
	v_sub_f32_e32 v8, v13, v11
	v_fmac_f32_e32 v57, 0x3f737871, v10
	v_fmac_f32_e32 v64, 0x3f167918, v6
	v_add_f32_e32 v5, v5, v8
	v_fmac_f32_e32 v57, 0xbf167918, v6
	v_fmac_f32_e32 v64, 0x3e9e377a, v5
	;; [unrolled: 1-line block ×3, first 2 shown]
	v_add_f32_e32 v5, v7, v36
	v_add_f32_e32 v5, v5, v70
	;; [unrolled: 1-line block ×5, first 2 shown]
	v_fma_f32 v45, -0.5, v5, v7
	v_sub_f32_e32 v5, v77, v87
	v_fmamk_f32 v95, v5, 0xbf737871, v45
	v_sub_f32_e32 v6, v78, v84
	v_sub_f32_e32 v8, v36, v70
	v_sub_f32_e32 v10, v75, v80
	v_fmac_f32_e32 v45, 0x3f737871, v5
	v_fmac_f32_e32 v95, 0xbf167918, v6
	v_add_f32_e32 v8, v8, v10
	v_fmac_f32_e32 v45, 0x3f167918, v6
	v_fmac_f32_e32 v95, 0x3e9e377a, v8
	v_fmac_f32_e32 v45, 0x3e9e377a, v8
	v_add_f32_e32 v8, v36, v75
	v_fmac_f32_e32 v7, -0.5, v8
	v_fmamk_f32 v96, v6, 0x3f737871, v7
	v_fmac_f32_e32 v7, 0xbf737871, v6
	v_fmac_f32_e32 v96, 0xbf167918, v5
	v_fmac_f32_e32 v7, 0x3f167918, v5
	v_add_f32_e32 v5, v9, v77
	v_add_f32_e32 v5, v5, v78
	v_add_f32_e32 v5, v5, v84
	v_sub_f32_e32 v8, v70, v36
	v_sub_f32_e32 v10, v80, v75
	v_add_f32_e32 v72, v5, v87
	v_add_f32_e32 v5, v78, v84
	v_add_f32_e32 v8, v8, v10
	v_fma_f32 v5, -0.5, v5, v9
	v_sub_f32_e32 v6, v36, v75
	v_fmac_f32_e32 v96, 0x3e9e377a, v8
	v_fmac_f32_e32 v7, 0x3e9e377a, v8
	v_fmamk_f32 v75, v6, 0x3f737871, v5
	v_sub_f32_e32 v8, v70, v80
	v_sub_f32_e32 v10, v77, v78
	v_sub_f32_e32 v11, v87, v84
	v_fmac_f32_e32 v5, 0xbf737871, v6
	v_fmac_f32_e32 v75, 0x3f167918, v8
	v_add_f32_e32 v10, v10, v11
	v_fmac_f32_e32 v5, 0xbf167918, v8
	v_fmac_f32_e32 v75, 0x3e9e377a, v10
	v_fmac_f32_e32 v5, 0x3e9e377a, v10
	v_add_f32_e32 v10, v77, v87
	v_fmac_f32_e32 v9, -0.5, v10
	v_fmamk_f32 v70, v8, 0xbf737871, v9
	v_fmac_f32_e32 v9, 0x3f737871, v8
	v_fmac_f32_e32 v70, 0x3f167918, v6
	v_fmac_f32_e32 v9, 0xbf167918, v6
	v_add_f32_e32 v6, v40, v98
	v_add_f32_e32 v6, v6, v110
	v_add_f32_e32 v6, v6, v128
	v_sub_f32_e32 v10, v78, v77
	v_sub_f32_e32 v11, v84, v87
	v_add_f32_e32 v84, v6, v130
	v_add_f32_e32 v6, v110, v128
	v_add_f32_e32 v10, v10, v11
	v_fma_f32 v35, -0.5, v6, v40
	v_sub_f32_e32 v6, v101, v97
	v_fmac_f32_e32 v70, 0x3e9e377a, v10
	v_fmac_f32_e32 v9, 0x3e9e377a, v10
	;; [unrolled: 28-line block ×3, first 2 shown]
	v_fmamk_f32 v10, v12, 0x3f737871, v6
	v_sub_f32_e32 v13, v110, v128
	v_sub_f32_e32 v11, v101, v132
	;; [unrolled: 1-line block ×3, first 2 shown]
	v_fmac_f32_e32 v6, 0xbf737871, v12
	v_fmac_f32_e32 v10, 0x3f167918, v13
	v_add_f32_e32 v11, v11, v14
	v_fmac_f32_e32 v6, 0xbf167918, v13
	v_fmac_f32_e32 v10, 0x3e9e377a, v11
	;; [unrolled: 1-line block ×3, first 2 shown]
	v_add_f32_e32 v11, v101, v97
	v_fmac_f32_e32 v2, -0.5, v11
	v_fmamk_f32 v11, v13, 0xbf737871, v2
	v_fmac_f32_e32 v2, 0x3f737871, v13
	v_fmac_f32_e32 v11, 0x3f167918, v12
	;; [unrolled: 1-line block ×3, first 2 shown]
	v_add_f32_e32 v12, v39, v131
	v_add_f32_e32 v12, v12, v103
	;; [unrolled: 1-line block ×3, first 2 shown]
	v_sub_f32_e32 v14, v132, v101
	v_sub_f32_e32 v15, v129, v97
	v_add_f32_e32 v80, v12, v113
	v_add_f32_e32 v12, v103, v109
	v_fmac_f32_e32 v54, v53, v34
	v_add_f32_e32 v14, v14, v15
	v_fma_f32 v34, -0.5, v12, v39
	v_sub_f32_e32 v12, v102, v114
	v_fmac_f32_e32 v11, 0x3e9e377a, v14
	v_fmac_f32_e32 v2, 0x3e9e377a, v14
	v_fmamk_f32 v83, v12, 0xbf737871, v34
	v_sub_f32_e32 v13, v104, v112
	v_sub_f32_e32 v14, v131, v103
	;; [unrolled: 1-line block ×3, first 2 shown]
	v_fmac_f32_e32 v34, 0x3f737871, v12
	v_fmac_f32_e32 v83, 0xbf167918, v13
	v_add_f32_e32 v14, v14, v15
	v_fmac_f32_e32 v34, 0x3f167918, v13
	v_fmac_f32_e32 v83, 0x3e9e377a, v14
	;; [unrolled: 1-line block ×3, first 2 shown]
	v_add_f32_e32 v14, v131, v113
	v_fmac_f32_e32 v39, -0.5, v14
	v_fmamk_f32 v48, v13, 0x3f737871, v39
	v_fmac_f32_e32 v39, 0xbf737871, v13
	v_fmac_f32_e32 v48, 0xbf167918, v12
	;; [unrolled: 1-line block ×3, first 2 shown]
	v_add_f32_e32 v12, v3, v102
	v_sub_f32_e32 v14, v103, v131
	v_sub_f32_e32 v15, v109, v113
	v_add_f32_e32 v12, v12, v104
	v_add_f32_e32 v14, v14, v15
	;; [unrolled: 1-line block ×3, first 2 shown]
	v_fmac_f32_e32 v48, 0x3e9e377a, v14
	v_fmac_f32_e32 v39, 0x3e9e377a, v14
	v_add_f32_e32 v14, v12, v114
	v_add_f32_e32 v12, v104, v112
	v_fma_f32 v13, -0.5, v12, v3
	v_sub_f32_e32 v12, v131, v113
	v_fmamk_f32 v15, v12, 0x3f737871, v13
	v_sub_f32_e32 v20, v102, v104
	v_sub_f32_e32 v32, v114, v112
	v_fmac_f32_e32 v13, 0xbf737871, v12
	v_fmac_f32_e32 v15, 0x3f167918, v21
	v_add_f32_e32 v20, v20, v32
	v_fmac_f32_e32 v13, 0xbf167918, v21
	v_fmac_f32_e32 v15, 0x3e9e377a, v20
	;; [unrolled: 1-line block ×3, first 2 shown]
	v_add_f32_e32 v20, v102, v114
	v_fmac_f32_e32 v3, -0.5, v20
	v_fmamk_f32 v20, v21, 0xbf737871, v3
	v_fmac_f32_e32 v3, 0x3f737871, v21
	v_fmac_f32_e32 v20, 0x3f167918, v12
	;; [unrolled: 1-line block ×3, first 2 shown]
	v_add_f32_e32 v12, v37, v105
	v_add_f32_e32 v12, v12, v107
	v_sub_f32_e32 v32, v104, v102
	v_sub_f32_e32 v33, v112, v114
	v_add_f32_e32 v12, v12, v52
	v_add_f32_e32 v32, v32, v33
	;; [unrolled: 1-line block ×4, first 2 shown]
	v_fmac_f32_e32 v20, 0x3e9e377a, v32
	v_fmac_f32_e32 v3, 0x3e9e377a, v32
	v_fma_f32 v32, -0.5, v12, v37
	v_sub_f32_e32 v12, v106, v117
	v_fmamk_f32 v78, v12, 0xbf737871, v32
	v_sub_f32_e32 v21, v108, v115
	v_sub_f32_e32 v33, v105, v107
	;; [unrolled: 1-line block ×3, first 2 shown]
	v_fmac_f32_e32 v32, 0x3f737871, v12
	v_fmac_f32_e32 v78, 0xbf167918, v21
	v_add_f32_e32 v33, v33, v36
	v_fmac_f32_e32 v32, 0x3f167918, v21
	v_fmac_f32_e32 v78, 0x3e9e377a, v33
	;; [unrolled: 1-line block ×3, first 2 shown]
	v_add_f32_e32 v33, v105, v116
	v_fmac_f32_e32 v37, -0.5, v33
	v_fmamk_f32 v46, v21, 0x3f737871, v37
	v_fmac_f32_e32 v37, 0xbf737871, v21
	v_fmac_f32_e32 v46, 0xbf167918, v12
	;; [unrolled: 1-line block ×3, first 2 shown]
	v_add_f32_e32 v12, v1, v106
	v_add_f32_e32 v12, v12, v108
	v_sub_f32_e32 v33, v107, v105
	v_sub_f32_e32 v36, v52, v116
	v_add_f32_e32 v12, v12, v115
	v_add_f32_e32 v33, v33, v36
	;; [unrolled: 1-line block ×4, first 2 shown]
	v_fmac_f32_e32 v46, 0x3e9e377a, v33
	v_fmac_f32_e32 v37, 0x3e9e377a, v33
	v_fma_f32 v12, -0.5, v12, v1
	v_sub_f32_e32 v33, v105, v116
	v_fmamk_f32 v50, v33, 0x3f737871, v12
	v_sub_f32_e32 v36, v107, v52
	v_sub_f32_e32 v47, v106, v108
	;; [unrolled: 1-line block ×3, first 2 shown]
	v_fmac_f32_e32 v12, 0xbf737871, v33
	v_fmac_f32_e32 v50, 0x3f167918, v36
	v_add_f32_e32 v47, v47, v51
	v_fmac_f32_e32 v12, 0xbf167918, v36
	v_fmac_f32_e32 v50, 0x3e9e377a, v47
	;; [unrolled: 1-line block ×3, first 2 shown]
	v_add_f32_e32 v47, v106, v117
	v_fmac_f32_e32 v1, -0.5, v47
	v_fmamk_f32 v51, v36, 0xbf737871, v1
	v_fmac_f32_e32 v1, 0x3f737871, v36
	v_fmac_f32_e32 v51, 0x3f167918, v33
	;; [unrolled: 1-line block ×3, first 2 shown]
	v_add_f32_e32 v33, v4, v118
	v_add_f32_e32 v33, v33, v120
	;; [unrolled: 1-line block ×3, first 2 shown]
	v_sub_f32_e32 v47, v108, v106
	v_sub_f32_e32 v52, v115, v117
	v_add_f32_e32 v36, v33, v54
	v_add_f32_e32 v33, v120, v122
	;; [unrolled: 1-line block ×3, first 2 shown]
	v_fma_f32 v33, -0.5, v33, v4
	v_sub_f32_e32 v52, v119, v124
	v_fmac_f32_e32 v51, 0x3e9e377a, v47
	v_fmac_f32_e32 v1, 0x3e9e377a, v47
	v_fmamk_f32 v47, v52, 0xbf737871, v33
	v_sub_f32_e32 v53, v121, v123
	v_sub_f32_e32 v55, v118, v120
	;; [unrolled: 1-line block ×3, first 2 shown]
	v_fmac_f32_e32 v33, 0x3f737871, v52
	v_fmac_f32_e32 v47, 0xbf167918, v53
	v_add_f32_e32 v55, v55, v77
	v_fmac_f32_e32 v33, 0x3f167918, v53
	v_fmac_f32_e32 v47, 0x3e9e377a, v55
	v_fmac_f32_e32 v33, 0x3e9e377a, v55
	v_add_f32_e32 v55, v118, v54
	v_fmac_f32_e32 v4, -0.5, v55
	v_fmamk_f32 v77, v53, 0x3f737871, v4
	v_sub_f32_e32 v55, v120, v118
	v_sub_f32_e32 v97, v122, v54
	v_fmac_f32_e32 v4, 0xbf737871, v53
	v_add_f32_e32 v53, v121, v123
	v_fmac_f32_e32 v77, 0xbf167918, v52
	v_add_f32_e32 v55, v55, v97
	v_fmac_f32_e32 v4, 0x3f167918, v52
	v_fma_f32 v53, -0.5, v53, v0
	v_sub_f32_e32 v97, v118, v54
	v_fmac_f32_e32 v77, 0x3e9e377a, v55
	v_fmac_f32_e32 v4, 0x3e9e377a, v55
	v_fmamk_f32 v54, v97, 0x3f737871, v53
	v_sub_f32_e32 v98, v120, v122
	v_sub_f32_e32 v55, v119, v121
	;; [unrolled: 1-line block ×3, first 2 shown]
	v_fmac_f32_e32 v53, 0xbf737871, v97
	v_fmac_f32_e32 v54, 0x3f167918, v98
	v_add_f32_e32 v55, v55, v101
	v_fmac_f32_e32 v53, 0xbf167918, v98
	v_fmac_f32_e32 v54, 0x3e9e377a, v55
	;; [unrolled: 1-line block ×3, first 2 shown]
	v_add_f32_e32 v55, v119, v124
	v_add_f32_e32 v52, v0, v119
	v_fmac_f32_e32 v0, -0.5, v55
	v_fmamk_f32 v55, v98, 0xbf737871, v0
	v_fmac_f32_e32 v0, 0x3f737871, v98
	v_fmac_f32_e32 v55, 0x3f167918, v97
	;; [unrolled: 1-line block ×3, first 2 shown]
	v_add3_u32 v97, 0, v44, v29
	ds_write2_b32 v97, v30, v31 offset1:15
	ds_write2_b32 v97, v94, v93 offset0:30 offset1:45
	ds_write_b32 v97, v23 offset:240
	v_mul_u32_u24_e32 v23, 0x12c, v38
	v_add3_u32 v93, 0, v23, v27
	v_perm_b32 v23, v43, v41, s2
	ds_write2_b32 v93, v88, v95 offset1:15
	ds_write2_b32 v93, v96, v7 offset0:30 offset1:45
	ds_write_b32 v93, v45 offset:240
	v_mul_u32_u24_e32 v7, 0x12c, v42
	v_pk_mul_lo_u16 v23, v23, s3 op_sel_hi:[1,0]
	v_add3_u32 v7, 0, v7, v26
	v_and_b32_e32 v26, 0xfffc, v23
	ds_write2_b32 v7, v84, v87 offset1:15
	ds_write2_b32 v7, v82, v40 offset0:30 offset1:45
	ds_write_b32 v7, v35 offset:240
	v_add3_u32 v82, 0, v26, v25
	v_lshrrev_b32_e32 v23, 16, v23
	v_sub_f32_e32 v101, v121, v119
	v_sub_f32_e32 v102, v123, v124
	ds_write2_b32 v82, v80, v83 offset1:15
	ds_write2_b32 v82, v48, v39 offset0:30 offset1:45
	ds_write_b32 v82, v34 offset:240
	v_add3_u32 v80, 0, v23, v24
	v_mul_u32_u24_e32 v23, 0x12c, v28
	v_add_f32_e32 v52, v52, v121
	v_add_f32_e32 v101, v101, v102
	v_add3_u32 v83, 0, v23, v22
	v_add_f32_e32 v52, v52, v123
	v_fmac_f32_e32 v0, 0x3e9e377a, v101
	ds_write2_b32 v80, v49, v78 offset1:15
	ds_write2_b32 v80, v46, v37 offset0:30 offset1:45
	ds_write_b32 v80, v32 offset:240
	ds_write2_b32 v83, v36, v47 offset1:15
	ds_write2_b32 v83, v77, v4 offset0:30 offset1:45
	ds_write_b32 v83, v33 offset:240
	v_add_u32_e32 v77, 0x3e0, v71
	s_movk_i32 s2, 0x4b
	v_add_f32_e32 v52, v52, v124
	v_fmac_f32_e32 v55, 0x3e9e377a, v101
	s_waitcnt lgkmcnt(0)
	s_barrier
	ds_read2_b32 v[24:25], v71 offset1:125
	ds_read2_b32 v[46:47], v58 offset0:113 offset1:238
	ds_read2_b32 v[44:45], v89 offset0:101 offset1:226
	;; [unrolled: 1-line block ×13, first 2 shown]
	ds_read_b32 v78, v61
	ds_read_b32 v88, v71 offset:14500
	s_waitcnt lgkmcnt(0)
	s_barrier
	ds_write2_b32 v97, v66, v68 offset1:15
	ds_write2_b32 v97, v64, v57 offset0:30 offset1:45
	ds_write_b32 v97, v56 offset:240
	ds_write2_b32 v93, v72, v75 offset1:15
	ds_write2_b32 v93, v70, v9 offset0:30 offset1:45
	ds_write_b32 v93, v5 offset:240
	;; [unrolled: 3-line block ×6, first 2 shown]
	v_add_u32_e32 v0, 0xffffffb5, v18
	v_cmp_gt_u32_e32 vcc, s2, v18
	v_mov_b32_e32 v21, 0
	s_mov_b32 s2, 0xb4e9
	v_cndmask_b32_e32 v66, v0, v18, vcc
	v_mul_i32_i24_e32 v20, 9, v66
	v_lshl_add_u64 v[50:51], v[20:21], 3, s[4:5]
	v_mul_u32_u24_sdwa v20, v63, s2 dst_sel:DWORD dst_unused:UNUSED_PAD src0_sel:WORD_0 src1_sel:DWORD
	v_sub_u16_sdwa v52, v63, v20 dst_sel:DWORD dst_unused:UNUSED_PAD src0_sel:DWORD src1_sel:WORD_1
	v_lshrrev_b16_e32 v52, 1, v52
	v_add_u16_sdwa v20, v52, v20 dst_sel:DWORD dst_unused:UNUSED_PAD src0_sel:DWORD src1_sel:WORD_1
	v_lshrrev_b16_e32 v20, 6, v20
	s_waitcnt lgkmcnt(0)
	s_barrier
	global_load_dwordx4 v[12:15], v[50:51], off offset:576
	global_load_dwordx4 v[8:11], v[50:51], off offset:592
	;; [unrolled: 1-line block ×4, first 2 shown]
	v_mul_lo_u16_e32 v52, 0x4b, v20
	v_sub_u16_e32 v64, v63, v52
	v_mul_u32_u24_e32 v52, 9, v64
	v_lshlrev_b32_e32 v80, 3, v52
	s_movk_i32 s2, 0xdb
	global_load_dwordx4 v[94:97], v80, s[4:5] offset:576
	v_mul_lo_u16_sdwa v52, v59, s2 dst_sel:DWORD dst_unused:UNUSED_PAD src0_sel:BYTE_0 src1_sel:DWORD
	v_lshrrev_b16_e32 v70, 14, v52
	v_mul_lo_u16_e32 v52, 0x4b, v70
	v_sub_u16_e32 v68, v59, v52
	v_mov_b32_e32 v52, 9
	v_mul_u32_u24_sdwa v52, v68, v52 dst_sel:DWORD dst_unused:UNUSED_PAD src0_sel:BYTE_0 src1_sel:DWORD
	v_lshlrev_b32_e32 v72, 3, v52
	global_load_dwordx4 v[102:105], v72, s[4:5] offset:576
	global_load_dwordx4 v[106:109], v72, s[4:5] offset:592
	global_load_dwordx2 v[82:83], v[50:51], off offset:640
	global_load_dwordx4 v[112:115], v72, s[4:5] offset:608
	ds_read2_b32 v[56:57], v58 offset0:113 offset1:238
	ds_read2_b32 v[120:121], v89 offset0:101 offset1:226
	;; [unrolled: 1-line block ×5, first 2 shown]
	ds_read_b32 v75, v61
	global_load_dwordx4 v[116:119], v72, s[4:5] offset:624
	ds_read2_b32 v[124:125], v91 offset0:65 offset1:190
	ds_read2_b32 v[50:51], v81 offset0:59 offset1:184
	ds_read_b32 v98, v71 offset:14500
	v_cmp_lt_u32_e32 vcc, s11, v18
	v_lshlrev_b32_e32 v66, 2, v66
	s_movk_i32 s3, 0x1000
	s_mov_b32 s2, 0x3e9e377a
	s_mov_b32 s6, 0x3f737871
	s_waitcnt vmcnt(9) lgkmcnt(3)
	v_mul_f32_e32 v101, v75, v13
	v_mul_f32_e32 v13, v78, v13
	s_waitcnt vmcnt(7)
	v_mul_f32_e32 v131, v122, v5
	v_mul_f32_e32 v5, v42, v5
	v_fmac_f32_e32 v101, v78, v12
	v_fma_f32 v110, v75, v12, -v13
	v_mul_f32_e32 v126, v57, v15
	v_mul_f32_e32 v12, v47, v15
	v_fmac_f32_e32 v131, v42, v4
	v_fma_f32 v122, v122, v4, -v5
	v_mul_f32_e32 v4, v29, v7
	v_fmac_f32_e32 v126, v47, v14
	v_fma_f32 v127, v57, v14, -v12
	global_load_dwordx2 v[14:15], v72, s[4:5] offset:640
	v_fma_f32 v133, v53, v6, -v4
	ds_read2_b32 v[12:13], v77 offset0:2 offset1:252
	ds_read2_b32 v[4:5], v69 offset0:107 offset1:232
	s_waitcnt vmcnt(7) lgkmcnt(4)
	v_mul_f32_e32 v134, v124, v1
	v_mul_f32_e32 v1, v40, v1
	v_fmac_f32_e32 v134, v40, v0
	v_fma_f32 v124, v124, v0, -v1
	v_mul_f32_e32 v0, v27, v3
	v_mul_f32_e32 v128, v120, v9
	;; [unrolled: 1-line block ×4, first 2 shown]
	s_waitcnt lgkmcnt(3)
	v_mul_f32_e32 v135, v51, v3
	v_fma_f32 v51, v51, v2, -v0
	s_waitcnt vmcnt(6)
	v_mul_f32_e32 v0, v46, v95
	v_fmac_f32_e32 v128, v44, v8
	v_fma_f32 v120, v120, v8, -v9
	v_fmac_f32_e32 v129, v31, v10
	v_mul_f32_e32 v8, v31, v11
	v_mul_f32_e32 v132, v53, v7
	;; [unrolled: 1-line block ×3, first 2 shown]
	v_fma_f32 v53, v56, v94, -v0
	v_mul_f32_e32 v0, v49, v97
	v_fmac_f32_e32 v135, v27, v2
	v_fmac_f32_e32 v31, v46, v94
	s_waitcnt lgkmcnt(0)
	v_fma_f32 v72, v5, v96, -v0
	global_load_dwordx4 v[0:3], v80, s[4:5] offset:592
	ds_read2_b32 v[56:57], v99 offset0:47 offset1:172
	ds_read2_b32 v[46:47], v74 offset0:89 offset1:214
	v_mul_f32_e32 v75, v5, v97
	s_waitcnt vmcnt(6)
	v_mul_f32_e32 v5, v48, v105
	v_mul_f32_e32 v94, v4, v105
	v_fma_f32 v95, v4, v104, -v5
	v_mul_f32_e32 v4, v23, v103
	v_fmac_f32_e32 v132, v29, v6
	v_fmac_f32_e32 v75, v49, v96
	;; [unrolled: 1-line block ×3, first 2 shown]
	v_mul_f32_e32 v29, v13, v103
	v_fma_f32 v13, v13, v102, -v4
	s_waitcnt vmcnt(5)
	v_mul_f32_e32 v4, v45, v107
	ds_read2_b32 v[48:49], v79 offset0:71 offset1:196
	v_fmac_f32_e32 v29, v23, v102
	v_mul_f32_e32 v27, v121, v107
	v_fma_f32 v23, v121, v106, -v4
	v_mul_f32_e32 v4, v36, v109
	v_fmac_f32_e32 v27, v45, v106
	s_waitcnt lgkmcnt(1)
	v_fma_f32 v97, v46, v108, -v4
	s_waitcnt vmcnt(4)
	v_mul_f32_e32 v4, v38, v83
	ds_read2_b32 v[44:45], v85 offset0:53 offset1:178
	v_mul_f32_e32 v96, v46, v109
	v_mul_f32_e32 v46, v56, v83
	v_fma_f32 v102, v56, v82, -v4
	s_waitcnt vmcnt(3)
	v_mul_f32_e32 v4, v43, v113
	v_fmac_f32_e32 v46, v38, v82
	v_fma_f32 v38, v123, v112, -v4
	v_mul_f32_e32 v4, v34, v115
	v_fma_f32 v130, v55, v10, -v8
	s_waitcnt lgkmcnt(1)
	v_fma_f32 v104, v48, v114, -v4
	global_load_dwordx4 v[8:11], v80, s[4:5] offset:608
	s_waitcnt vmcnt(3)
	v_mul_f32_e32 v4, v41, v117
	v_fma_f32 v40, v125, v116, -v4
	v_mul_f32_e32 v4, v32, v119
	s_waitcnt lgkmcnt(0)
	v_fma_f32 v105, v44, v118, -v4
	global_load_dwordx4 v[4:7], v80, s[4:5] offset:624
	v_mul_f32_e32 v55, v123, v113
	v_fmac_f32_e32 v55, v43, v112
	global_load_dwordx2 v[42:43], v80, s[4:5] offset:640
	v_mul_f32_e32 v103, v48, v115
	v_fmac_f32_e32 v103, v34, v114
	v_fmac_f32_e32 v96, v36, v108
	v_mul_f32_e32 v93, v125, v117
	v_fmac_f32_e32 v93, v41, v116
	v_mul_f32_e32 v41, v44, v119
	v_fmac_f32_e32 v41, v32, v118
	v_sub_f32_e32 v32, v134, v46
	s_waitcnt vmcnt(4)
	v_mul_f32_e32 v106, v57, v15
	v_mul_f32_e32 v15, v39, v15
	v_fmac_f32_e32 v106, v39, v14
	v_fma_f32 v39, v57, v14, -v15
	ds_read2_b32 v[14:15], v71 offset1:125
	s_waitcnt lgkmcnt(0)
	s_barrier
	s_waitcnt vmcnt(3)
	v_mul_f32_e32 v56, v54, v1
	v_mul_f32_e32 v1, v30, v1
	v_fmac_f32_e32 v56, v30, v0
	v_fma_f32 v34, v54, v0, -v1
	v_mul_f32_e32 v0, v37, v3
	v_fma_f32 v78, v47, v2, -v0
	v_mul_f32_e32 v82, v47, v3
	v_fmac_f32_e32 v82, v37, v2
	v_sub_f32_e32 v30, v46, v134
	s_waitcnt vmcnt(2)
	v_mul_f32_e32 v0, v28, v9
	v_fma_f32 v36, v52, v8, -v0
	v_mul_f32_e32 v0, v35, v11
	v_mul_f32_e32 v84, v49, v11
	v_fma_f32 v80, v49, v10, -v0
	s_waitcnt vmcnt(1)
	v_mul_f32_e32 v0, v26, v5
	v_fmac_f32_e32 v84, v35, v10
	v_fma_f32 v35, v50, v4, -v0
	v_mul_f32_e32 v0, v33, v7
	v_fma_f32 v83, v45, v6, -v0
	s_waitcnt vmcnt(0)
	v_mul_f32_e32 v0, v88, v43
	v_fma_f32 v37, v98, v42, -v0
	v_add_f32_e32 v0, v24, v126
	v_add_f32_e32 v0, v0, v129
	v_add_f32_e32 v0, v0, v132
	v_add_f32_e32 v1, v0, v135
	v_add_f32_e32 v0, v129, v132
	v_mul_f32_e32 v57, v52, v9
	v_mul_f32_e32 v52, v50, v5
	;; [unrolled: 1-line block ×3, first 2 shown]
	v_fma_f32 v2, -0.5, v0, v24
	v_sub_f32_e32 v0, v127, v51
	v_fmac_f32_e32 v52, v26, v4
	v_fmac_f32_e32 v87, v33, v6
	v_fmamk_f32 v3, v0, 0xbf737871, v2
	v_sub_f32_e32 v4, v130, v133
	v_sub_f32_e32 v5, v126, v129
	v_sub_f32_e32 v6, v135, v132
	v_fmac_f32_e32 v2, 0x3f737871, v0
	v_fmac_f32_e32 v3, 0xbf167918, v4
	v_add_f32_e32 v5, v5, v6
	v_fmac_f32_e32 v2, 0x3f167918, v4
	v_fmac_f32_e32 v3, 0x3e9e377a, v5
	;; [unrolled: 1-line block ×3, first 2 shown]
	v_add_f32_e32 v5, v126, v135
	v_fmac_f32_e32 v57, v28, v8
	v_fma_f32 v8, -0.5, v5, v24
	v_fmamk_f32 v9, v4, 0x3f737871, v8
	v_fmac_f32_e32 v8, 0xbf737871, v4
	v_fmac_f32_e32 v9, 0xbf167918, v0
	;; [unrolled: 1-line block ×3, first 2 shown]
	v_add_f32_e32 v0, v14, v127
	v_add_f32_e32 v0, v0, v130
	;; [unrolled: 1-line block ×3, first 2 shown]
	v_sub_f32_e32 v5, v129, v126
	v_sub_f32_e32 v6, v132, v135
	v_add_f32_e32 v10, v0, v51
	v_add_f32_e32 v0, v130, v133
	;; [unrolled: 1-line block ×3, first 2 shown]
	v_fma_f32 v11, -0.5, v0, v14
	v_sub_f32_e32 v0, v126, v135
	v_fmac_f32_e32 v9, 0x3e9e377a, v5
	v_fmac_f32_e32 v8, 0x3e9e377a, v5
	v_fmamk_f32 v24, v0, 0x3f737871, v11
	v_sub_f32_e32 v4, v129, v132
	v_sub_f32_e32 v5, v127, v130
	;; [unrolled: 1-line block ×3, first 2 shown]
	v_fmac_f32_e32 v11, 0xbf737871, v0
	v_fmac_f32_e32 v24, 0x3f167918, v4
	v_add_f32_e32 v5, v5, v6
	v_fmac_f32_e32 v11, 0xbf167918, v4
	v_fmac_f32_e32 v24, 0x3e9e377a, v5
	;; [unrolled: 1-line block ×3, first 2 shown]
	v_add_f32_e32 v5, v127, v51
	v_fma_f32 v14, -0.5, v5, v14
	v_fmamk_f32 v26, v4, 0xbf737871, v14
	v_fmac_f32_e32 v14, 0x3f737871, v4
	v_fmac_f32_e32 v26, 0x3f167918, v0
	;; [unrolled: 1-line block ×3, first 2 shown]
	v_add_f32_e32 v0, v101, v128
	v_add_f32_e32 v0, v0, v131
	v_sub_f32_e32 v5, v130, v127
	v_sub_f32_e32 v6, v133, v51
	v_add_f32_e32 v0, v0, v134
	v_add_f32_e32 v5, v5, v6
	;; [unrolled: 1-line block ×4, first 2 shown]
	v_fmac_f32_e32 v26, 0x3e9e377a, v5
	v_fmac_f32_e32 v14, 0x3e9e377a, v5
	v_fma_f32 v5, -0.5, v0, v101
	v_sub_f32_e32 v0, v120, v102
	v_fmamk_f32 v28, v0, 0xbf737871, v5
	v_sub_f32_e32 v6, v122, v124
	v_sub_f32_e32 v7, v128, v131
	v_fmac_f32_e32 v5, 0x3f737871, v0
	v_fmac_f32_e32 v28, 0xbf167918, v6
	v_add_f32_e32 v7, v7, v30
	v_fmac_f32_e32 v5, 0x3f167918, v6
	v_fmac_f32_e32 v28, 0x3e9e377a, v7
	;; [unrolled: 1-line block ×3, first 2 shown]
	v_add_f32_e32 v7, v128, v46
	v_fmac_f32_e32 v101, -0.5, v7
	v_fmamk_f32 v30, v6, 0x3f737871, v101
	v_fmac_f32_e32 v101, 0xbf737871, v6
	v_fmac_f32_e32 v30, 0xbf167918, v0
	v_fmac_f32_e32 v101, 0x3f167918, v0
	v_add_f32_e32 v0, v110, v120
	v_add_f32_e32 v0, v0, v122
	v_mul_f32_e32 v77, v98, v43
	v_add_f32_e32 v0, v0, v124
	v_fmac_f32_e32 v77, v88, v42
	v_sub_f32_e32 v7, v131, v128
	v_add_f32_e32 v42, v0, v102
	v_add_f32_e32 v0, v122, v124
	;; [unrolled: 1-line block ×3, first 2 shown]
	v_fma_f32 v43, -0.5, v0, v110
	v_sub_f32_e32 v0, v128, v46
	v_fmac_f32_e32 v30, 0x3e9e377a, v7
	v_fmac_f32_e32 v101, 0x3e9e377a, v7
	v_fmamk_f32 v44, v0, 0x3f737871, v43
	v_sub_f32_e32 v6, v131, v134
	v_sub_f32_e32 v7, v120, v122
	;; [unrolled: 1-line block ×3, first 2 shown]
	v_fmac_f32_e32 v43, 0xbf737871, v0
	v_fmac_f32_e32 v44, 0x3f167918, v6
	v_add_f32_e32 v7, v7, v32
	v_fmac_f32_e32 v43, 0xbf167918, v6
	v_fmac_f32_e32 v44, 0x3e9e377a, v7
	;; [unrolled: 1-line block ×3, first 2 shown]
	v_add_f32_e32 v7, v120, v102
	v_fmac_f32_e32 v110, -0.5, v7
	v_fmamk_f32 v45, v6, 0xbf737871, v110
	v_sub_f32_e32 v7, v122, v120
	v_sub_f32_e32 v32, v124, v102
	v_fmac_f32_e32 v110, 0x3f737871, v6
	v_add_f32_e32 v7, v7, v32
	v_fmac_f32_e32 v110, 0xbf167918, v0
	v_fmac_f32_e32 v110, 0x3e9e377a, v7
	v_mul_f32_e32 v54, 0xbf737871, v110
	v_fmac_f32_e32 v45, 0x3f167918, v0
	v_fmac_f32_e32 v54, 0xbe9e377a, v101
	v_mul_f32_e32 v88, 0xbf167918, v43
	v_mul_f32_e32 v98, 0xbf4f1bbd, v43
	v_fmac_f32_e32 v45, 0x3e9e377a, v7
	v_add_f32_e32 v32, v1, v4
	v_add_f32_e32 v7, v8, v54
	v_fmac_f32_e32 v88, 0xbf4f1bbd, v5
	v_fmac_f32_e32 v98, 0x3f167918, v5
	v_sub_f32_e32 v5, v1, v4
	v_sub_f32_e32 v1, v8, v54
	v_add_f32_e32 v8, v25, v94
	v_mul_f32_e32 v46, 0xbf167918, v44
	v_mul_f32_e32 v47, 0xbf737871, v45
	;; [unrolled: 1-line block ×3, first 2 shown]
	v_add_f32_e32 v8, v8, v96
	v_fmac_f32_e32 v46, 0x3f4f1bbd, v28
	v_fmac_f32_e32 v47, 0x3e9e377a, v30
	;; [unrolled: 1-line block ×3, first 2 shown]
	v_mul_f32_e32 v28, 0x3e9e377a, v45
	v_add_f32_e32 v8, v8, v103
	v_add_f32_e32 v6, v9, v47
	;; [unrolled: 1-line block ×3, first 2 shown]
	v_fmac_f32_e32 v28, 0x3f737871, v30
	v_mul_f32_e32 v30, 0xbe9e377a, v110
	v_sub_f32_e32 v4, v9, v47
	v_sub_f32_e32 v47, v10, v42
	v_add_f32_e32 v10, v8, v41
	v_add_f32_e32 v8, v96, v103
	;; [unrolled: 1-line block ×3, first 2 shown]
	v_fmac_f32_e32 v30, 0x3f737871, v101
	v_add_f32_e32 v43, v11, v98
	v_sub_f32_e32 v45, v24, v44
	v_sub_f32_e32 v44, v11, v98
	v_fma_f32 v11, -0.5, v8, v25
	v_sub_f32_e32 v8, v95, v105
	v_add_f32_e32 v33, v3, v46
	v_add_f32_e32 v48, v26, v28
	;; [unrolled: 1-line block ×3, first 2 shown]
	v_sub_f32_e32 v3, v3, v46
	v_sub_f32_e32 v46, v26, v28
	;; [unrolled: 1-line block ×3, first 2 shown]
	v_fmamk_f32 v14, v8, 0xbf737871, v11
	v_sub_f32_e32 v9, v97, v104
	v_sub_f32_e32 v24, v94, v96
	v_sub_f32_e32 v26, v41, v103
	v_fmac_f32_e32 v11, 0x3f737871, v8
	v_fmac_f32_e32 v14, 0xbf167918, v9
	v_add_f32_e32 v24, v24, v26
	v_fmac_f32_e32 v11, 0x3f167918, v9
	v_fmac_f32_e32 v14, 0x3e9e377a, v24
	;; [unrolled: 1-line block ×3, first 2 shown]
	v_add_f32_e32 v24, v94, v41
	v_fmac_f32_e32 v25, -0.5, v24
	v_add_f32_e32 v0, v2, v88
	v_sub_f32_e32 v2, v2, v88
	v_fmamk_f32 v88, v9, 0x3f737871, v25
	v_fmac_f32_e32 v25, 0xbf737871, v9
	v_fmac_f32_e32 v88, 0xbf167918, v8
	v_fmac_f32_e32 v25, 0x3f167918, v8
	v_add_f32_e32 v8, v15, v95
	v_add_f32_e32 v8, v8, v97
	v_add_f32_e32 v8, v8, v104
	v_sub_f32_e32 v24, v96, v94
	v_sub_f32_e32 v26, v103, v41
	v_add_f32_e32 v98, v8, v105
	v_add_f32_e32 v8, v97, v104
	v_add_f32_e32 v24, v24, v26
	v_fma_f32 v101, -0.5, v8, v15
	v_sub_f32_e32 v8, v94, v41
	v_fmac_f32_e32 v88, 0x3e9e377a, v24
	v_fmac_f32_e32 v25, 0x3e9e377a, v24
	v_fmamk_f32 v94, v8, 0x3f737871, v101
	v_sub_f32_e32 v9, v96, v103
	v_sub_f32_e32 v24, v95, v97
	v_sub_f32_e32 v26, v105, v104
	v_fmac_f32_e32 v101, 0xbf737871, v8
	v_fmac_f32_e32 v94, 0x3f167918, v9
	v_add_f32_e32 v24, v24, v26
	v_fmac_f32_e32 v101, 0xbf167918, v9
	v_fmac_f32_e32 v94, 0x3e9e377a, v24
	v_fmac_f32_e32 v101, 0x3e9e377a, v24
	v_add_f32_e32 v24, v95, v105
	v_fmac_f32_e32 v15, -0.5, v24
	v_fmamk_f32 v96, v9, 0xbf737871, v15
	v_fmac_f32_e32 v15, 0x3f737871, v9
	v_fmac_f32_e32 v96, 0x3f167918, v8
	v_fmac_f32_e32 v15, 0xbf167918, v8
	v_add_f32_e32 v8, v29, v27
	v_add_f32_e32 v8, v8, v55
	v_add_f32_e32 v8, v8, v93
	v_sub_f32_e32 v24, v97, v95
	v_sub_f32_e32 v26, v104, v105
	v_add_f32_e32 v41, v8, v106
	v_add_f32_e32 v8, v55, v93
	v_add_f32_e32 v24, v24, v26
	v_fma_f32 v9, -0.5, v8, v29
	v_sub_f32_e32 v8, v23, v39
	v_fmac_f32_e32 v96, 0x3e9e377a, v24
	v_fmac_f32_e32 v15, 0x3e9e377a, v24
	v_fmamk_f32 v95, v8, 0xbf737871, v9
	v_sub_f32_e32 v24, v38, v40
	v_sub_f32_e32 v26, v27, v55
	v_sub_f32_e32 v28, v106, v93
	v_fmac_f32_e32 v9, 0x3f737871, v8
	v_fmac_f32_e32 v95, 0xbf167918, v24
	v_add_f32_e32 v26, v26, v28
	v_fmac_f32_e32 v9, 0x3f167918, v24
	v_fmac_f32_e32 v95, 0x3e9e377a, v26
	v_fmac_f32_e32 v9, 0x3e9e377a, v26
	v_add_f32_e32 v26, v27, v106
	v_fmac_f32_e32 v29, -0.5, v26
	;; [unrolled: 28-line block ×3, first 2 shown]
	v_fmamk_f32 v93, v24, 0xbf737871, v13
	v_sub_f32_e32 v23, v38, v23
	v_sub_f32_e32 v26, v40, v39
	v_fmac_f32_e32 v93, 0x3f167918, v8
	v_add_f32_e32 v23, v23, v26
	v_fmac_f32_e32 v93, 0x3e9e377a, v23
	v_fmac_f32_e32 v13, 0x3f737871, v24
	;; [unrolled: 1-line block ×3, first 2 shown]
	v_mul_f32_e32 v38, 0xbf167918, v27
	v_mul_f32_e32 v40, 0xbf737871, v93
	v_fmac_f32_e32 v13, 0x3e9e377a, v23
	v_fmac_f32_e32 v38, 0x3f4f1bbd, v95
	v_fmac_f32_e32 v40, 0x3e9e377a, v97
	v_mul_f32_e32 v106, 0x3f4f1bbd, v27
	v_mul_f32_e32 v93, 0x3e9e377a, v93
	v_add_f32_e32 v30, v14, v38
	v_add_f32_e32 v24, v88, v40
	v_mul_f32_e32 v104, 0xbf737871, v13
	v_fmac_f32_e32 v106, 0x3f167918, v95
	v_fmac_f32_e32 v93, 0x3f737871, v97
	v_mul_f32_e32 v95, 0xbe9e377a, v13
	v_mul_f32_e32 v97, 0xbf4f1bbd, v103
	v_sub_f32_e32 v13, v14, v38
	v_sub_f32_e32 v14, v88, v40
	v_add_f32_e32 v88, v82, v84
	v_mul_f32_e32 v105, 0xbf167918, v103
	v_add_f32_e32 v27, v96, v93
	v_fmac_f32_e32 v95, 0x3f737871, v29
	v_fmac_f32_e32 v97, 0x3f167918, v9
	v_sub_f32_e32 v40, v96, v93
	v_fma_f32 v88, -0.5, v88, v22
	v_sub_f32_e32 v93, v72, v83
	v_fmac_f32_e32 v104, 0xbe9e377a, v29
	v_fmac_f32_e32 v105, 0xbf4f1bbd, v9
	v_add_f32_e32 v55, v94, v106
	v_add_f32_e32 v39, v15, v95
	;; [unrolled: 1-line block ×3, first 2 shown]
	v_sub_f32_e32 v29, v94, v106
	v_sub_f32_e32 v15, v15, v95
	;; [unrolled: 1-line block ×3, first 2 shown]
	v_fmamk_f32 v94, v93, 0xbf737871, v88
	v_sub_f32_e32 v95, v78, v80
	v_sub_f32_e32 v96, v75, v82
	;; [unrolled: 1-line block ×3, first 2 shown]
	v_fmac_f32_e32 v88, 0x3f737871, v93
	v_fmac_f32_e32 v94, 0xbf167918, v95
	v_add_f32_e32 v96, v96, v97
	v_fmac_f32_e32 v88, 0x3f167918, v95
	v_fmac_f32_e32 v94, 0x3e9e377a, v96
	;; [unrolled: 1-line block ×3, first 2 shown]
	v_add_f32_e32 v96, v75, v87
	v_add_f32_e32 v28, v10, v41
	;; [unrolled: 1-line block ×3, first 2 shown]
	v_sub_f32_e32 v23, v10, v41
	v_sub_f32_e32 v10, v25, v104
	v_add_f32_e32 v25, v22, v75
	v_fmac_f32_e32 v22, -0.5, v96
	v_add_f32_e32 v54, v98, v102
	v_sub_f32_e32 v41, v98, v102
	v_add_f32_e32 v25, v25, v82
	v_fmamk_f32 v96, v95, 0x3f737871, v22
	v_sub_f32_e32 v97, v82, v75
	v_sub_f32_e32 v98, v84, v87
	v_fmac_f32_e32 v22, 0xbf737871, v95
	v_add_f32_e32 v95, v78, v80
	v_add_f32_e32 v25, v25, v84
	v_fmac_f32_e32 v96, 0xbf167918, v93
	v_add_f32_e32 v97, v97, v98
	v_fmac_f32_e32 v22, 0x3f167918, v93
	v_fma_f32 v95, -0.5, v95, v12
	v_sub_f32_e32 v75, v75, v87
	v_add_f32_e32 v25, v25, v87
	v_fmac_f32_e32 v96, 0x3e9e377a, v97
	v_fmac_f32_e32 v22, 0x3e9e377a, v97
	v_fmamk_f32 v97, v75, 0x3f737871, v95
	v_sub_f32_e32 v82, v82, v84
	v_sub_f32_e32 v84, v72, v78
	;; [unrolled: 1-line block ×3, first 2 shown]
	v_fmac_f32_e32 v95, 0xbf737871, v75
	v_fmac_f32_e32 v97, 0x3f167918, v82
	v_add_f32_e32 v84, v84, v87
	v_fmac_f32_e32 v95, 0xbf167918, v82
	v_fmac_f32_e32 v97, 0x3e9e377a, v84
	;; [unrolled: 1-line block ×3, first 2 shown]
	v_add_f32_e32 v84, v72, v83
	v_add_f32_e32 v93, v12, v72
	v_fmac_f32_e32 v12, -0.5, v84
	v_add_f32_e32 v93, v93, v78
	v_fmamk_f32 v84, v82, 0xbf737871, v12
	v_sub_f32_e32 v72, v78, v72
	v_sub_f32_e32 v78, v80, v83
	v_fmac_f32_e32 v12, 0x3f737871, v82
	v_fmac_f32_e32 v84, 0x3f167918, v75
	v_add_f32_e32 v72, v72, v78
	v_fmac_f32_e32 v12, 0xbf167918, v75
	v_fmac_f32_e32 v84, 0x3e9e377a, v72
	;; [unrolled: 1-line block ×3, first 2 shown]
	v_add_f32_e32 v72, v31, v56
	v_add_f32_e32 v72, v72, v57
	;; [unrolled: 1-line block ×6, first 2 shown]
	v_fma_f32 v80, -0.5, v72, v31
	v_sub_f32_e32 v72, v34, v37
	v_add_f32_e32 v93, v93, v83
	v_fmamk_f32 v82, v72, 0xbf737871, v80
	v_sub_f32_e32 v75, v36, v35
	v_sub_f32_e32 v83, v56, v57
	;; [unrolled: 1-line block ×3, first 2 shown]
	v_fmac_f32_e32 v80, 0x3f737871, v72
	v_fmac_f32_e32 v82, 0xbf167918, v75
	v_add_f32_e32 v83, v83, v87
	v_fmac_f32_e32 v80, 0x3f167918, v75
	v_fmac_f32_e32 v82, 0x3e9e377a, v83
	v_fmac_f32_e32 v80, 0x3e9e377a, v83
	v_add_f32_e32 v83, v56, v77
	v_fmac_f32_e32 v31, -0.5, v83
	v_fmamk_f32 v83, v75, 0x3f737871, v31
	v_fmac_f32_e32 v31, 0xbf737871, v75
	v_fmac_f32_e32 v83, 0xbf167918, v72
	v_fmac_f32_e32 v31, 0x3f167918, v72
	v_add_f32_e32 v72, v53, v34
	v_add_f32_e32 v72, v72, v36
	v_sub_f32_e32 v87, v57, v56
	v_sub_f32_e32 v98, v52, v77
	v_add_f32_e32 v72, v72, v35
	v_add_f32_e32 v87, v87, v98
	;; [unrolled: 1-line block ×4, first 2 shown]
	v_fma_f32 v101, -0.5, v72, v53
	v_sub_f32_e32 v56, v56, v77
	v_fmamk_f32 v72, v56, 0x3f737871, v101
	v_sub_f32_e32 v52, v57, v52
	v_sub_f32_e32 v57, v34, v36
	;; [unrolled: 1-line block ×3, first 2 shown]
	v_fmac_f32_e32 v101, 0xbf737871, v56
	v_fmac_f32_e32 v72, 0x3f167918, v52
	v_add_f32_e32 v57, v57, v75
	v_fmac_f32_e32 v101, 0xbf167918, v52
	v_fmac_f32_e32 v72, 0x3e9e377a, v57
	;; [unrolled: 1-line block ×3, first 2 shown]
	v_add_f32_e32 v57, v34, v37
	v_fmac_f32_e32 v53, -0.5, v57
	v_fmamk_f32 v57, v52, 0xbf737871, v53
	v_sub_f32_e32 v34, v36, v34
	v_sub_f32_e32 v35, v35, v37
	v_fmac_f32_e32 v57, 0x3f167918, v56
	v_add_f32_e32 v34, v34, v35
	v_fmac_f32_e32 v53, 0x3f737871, v52
	v_fmac_f32_e32 v57, 0x3e9e377a, v34
	;; [unrolled: 1-line block ×3, first 2 shown]
	v_mul_f32_e32 v102, 0xbf167918, v72
	v_mul_f32_e32 v106, 0x3f4f1bbd, v72
	v_fmac_f32_e32 v83, 0x3e9e377a, v87
	v_fmac_f32_e32 v53, 0x3e9e377a, v34
	;; [unrolled: 1-line block ×3, first 2 shown]
	v_mul_f32_e32 v103, 0xbf737871, v57
	v_fmac_f32_e32 v106, 0x3f167918, v82
	v_mul_f32_e32 v82, 0x3e9e377a, v57
	v_fmac_f32_e32 v31, 0x3e9e377a, v87
	v_fmac_f32_e32 v103, 0x3e9e377a, v83
	;; [unrolled: 1-line block ×3, first 2 shown]
	v_mul_f32_e32 v83, 0xbe9e377a, v53
	v_fmac_f32_e32 v83, 0x3f737871, v31
	v_add_f32_e32 v72, v12, v83
	v_sub_f32_e32 v83, v12, v83
	v_mov_b32_e32 v12, 0xbb8
	v_add_f32_e32 v8, v11, v105
	v_sub_f32_e32 v11, v11, v105
	v_mul_f32_e32 v105, 0xbf167918, v101
	v_cndmask_b32_e32 v12, 0, v12, vcc
	v_fmac_f32_e32 v105, 0xbf4f1bbd, v80
	v_add3_u32 v66, 0, v12, v66
	v_add_f32_e32 v37, v25, v78
	v_add_f32_e32 v52, v94, v102
	v_mul_f32_e32 v104, 0xbf737871, v53
	v_add_f32_e32 v34, v88, v105
	v_sub_f32_e32 v36, v25, v78
	v_sub_f32_e32 v25, v94, v102
	;; [unrolled: 1-line block ×3, first 2 shown]
	v_add_u32_e32 v88, 0x400, v66
	v_add_u32_e32 v94, 0x800, v66
	v_mul_f32_e32 v101, 0xbf4f1bbd, v101
	ds_write2_b32 v66, v32, v33 offset1:75
	ds_write2_b32 v66, v6, v7 offset0:150 offset1:225
	ds_write2_b32 v88, v0, v5 offset0:44 offset1:119
	;; [unrolled: 1-line block ×3, first 2 shown]
	v_mul_u32_u24_e32 v0, 0xbb8, v70
	v_lshlrev_b32_sdwa v1, v60, v68 dst_sel:DWORD dst_unused:UNUSED_PAD src0_sel:DWORD src1_sel:BYTE_0
	v_fmac_f32_e32 v104, 0xbe9e377a, v31
	v_fmac_f32_e32 v101, 0x3f167918, v80
	v_add3_u32 v60, 0, v0, v1
	v_mul_u32_u24_e32 v0, 0xbb8, v20
	v_lshlrev_b32_e32 v1, 2, v64
	v_add_f32_e32 v87, v22, v104
	v_add_f32_e32 v75, v93, v98
	;; [unrolled: 1-line block ×4, first 2 shown]
	v_sub_f32_e32 v78, v93, v98
	v_sub_f32_e32 v82, v84, v82
	;; [unrolled: 1-line block ×3, first 2 shown]
	v_add_u32_e32 v93, 0x600, v66
	v_add_u32_e32 v68, 0x400, v60
	;; [unrolled: 1-line block ×4, first 2 shown]
	v_add3_u32 v20, 0, v0, v1
	v_add_f32_e32 v35, v96, v103
	v_sub_f32_e32 v31, v96, v103
	v_sub_f32_e32 v22, v22, v104
	ds_write2_b32 v93, v3, v4 offset0:66 offset1:141
	ds_write2_b32 v60, v28, v30 offset1:75
	ds_write2_b32 v60, v24, v26 offset0:150 offset1:225
	ds_write2_b32 v68, v8, v23 offset0:44 offset1:119
	;; [unrolled: 1-line block ×4, first 2 shown]
	ds_write2_b32 v20, v37, v52 offset1:75
	ds_write2_b32 v20, v35, v87 offset0:150 offset1:225
	v_add_u32_e32 v64, 0x400, v20
	v_add_u32_e32 v87, 0x600, v20
	;; [unrolled: 1-line block ×3, first 2 shown]
	ds_write2_b32 v64, v34, v36 offset0:44 offset1:119
	ds_write2_b32 v87, v25, v31 offset0:66 offset1:141
	;; [unrolled: 1-line block ×3, first 2 shown]
	s_waitcnt lgkmcnt(0)
	s_barrier
	ds_read2_b32 v[52:53], v71 offset1:125
	ds_read2_b32 v[0:1], v58 offset0:113 offset1:238
	ds_read2_b32 v[4:5], v73 offset0:95 offset1:220
	;; [unrolled: 1-line block ×8, first 2 shown]
	ds_read_b32 v28, v71 offset:1000
	ds_read2_b32 v[22:23], v89 offset0:101 offset1:226
	ds_read2_b32 v[24:25], v100 offset0:83 offset1:208
	;; [unrolled: 1-line block ×4, first 2 shown]
	ds_read_b32 v14, v67
	ds_read_b32 v26, v61
	ds_read_b32 v8, v71 offset:14500
	v_add_f32_e32 v77, v97, v106
	v_sub_f32_e32 v80, v97, v106
	s_waitcnt lgkmcnt(0)
	s_barrier
	ds_write2_b32 v66, v50, v51 offset1:75
	ds_write2_b32 v66, v48, v49 offset0:150 offset1:225
	ds_write2_b32 v88, v43, v47 offset0:44 offset1:119
	ds_write2_b32 v93, v45, v46 offset0:66 offset1:141
	ds_write2_b32 v94, v42, v44 offset0:88 offset1:163
	ds_write2_b32 v60, v54, v55 offset1:75
	ds_write2_b32 v60, v27, v39 offset0:150 offset1:225
	ds_write2_b32 v68, v9, v41 offset0:44 offset1:119
	ds_write2_b32 v70, v29, v40 offset0:66 offset1:141
	ds_write2_b32 v95, v15, v38 offset0:88 offset1:163
	;; [unrolled: 5-line block ×3, first 2 shown]
	s_waitcnt lgkmcnt(0)
	s_barrier
	s_and_saveexec_b64 s[12:13], s[0:1]
	s_cbranch_execz .LBB0_13
; %bb.12:
	v_lshlrev_b32_e32 v20, 2, v90
	v_lshl_add_u64 v[46:47], v[20:21], 3, s[4:5]
	v_lshlrev_b32_e32 v20, 2, v92
	v_lshl_add_u64 v[60:61], v[20:21], 3, s[4:5]
	;; [unrolled: 2-line block ×6, first 2 shown]
	v_add_co_u32_e32 v40, vcc, s3, v38
	s_mov_b64 s[0:1], 0x1758
	s_nop 0
	v_addc_co_u32_e32 v41, vcc, 0, v39, vcc
	global_load_dwordx4 v[94:97], v[40:41], off offset:1880
	v_lshl_add_u64 v[38:39], v[38:39], 0, s[0:1]
	global_load_dwordx4 v[102:105], v[38:39], off offset:16
	v_sub_u32_e32 v15, 0, v111
	v_add_co_u32_e32 v128, vcc, s3, v106
	v_sub_u32_e32 v9, 0, v86
	v_mov_b32_e32 v78, v1
	v_mov_b32_e32 v86, v1
	v_add_u32_e32 v1, v65, v15
	v_addc_co_u32_e32 v129, vcc, 0, v107, vcc
	ds_read2_b32 v[48:49], v76 offset0:77 offset1:202
	ds_read2_b32 v[44:45], v73 offset0:95 offset1:220
	;; [unrolled: 1-line block ×12, first 2 shown]
	ds_read_b32 v42, v71 offset:14500
	ds_read_b32 v29, v71 offset:1000
	ds_read2_b32 v[84:85], v71 offset1:125
	v_mov_b32_e32 v114, v3
	v_mov_b32_e32 v116, v3
	v_add_u32_e32 v3, v62, v9
	ds_read_b32 v15, v1
	ds_read_b32 v27, v3
	v_lshl_add_u64 v[126:127], v[106:107], 0, s[0:1]
	global_load_dwordx4 v[98:101], v[128:129], off offset:1880
	global_load_dwordx4 v[106:109], v[126:127], off offset:16
	s_waitcnt lgkmcnt(13)
	v_mov_b32_e32 v120, v39
	v_mov_b32_e32 v118, v52
	;; [unrolled: 1-line block ×9, first 2 shown]
	s_waitcnt lgkmcnt(2)
	v_mov_b32_e32 v119, v84
	v_mov_b32_e32 v19, v21
	v_lshl_add_u64 v[62:63], v[18:19], 3, v[16:17]
	v_lshl_add_u64 v[18:19], v[46:47], 0, s[0:1]
	;; [unrolled: 1-line block ×5, first 2 shown]
	s_movk_i32 s0, 0x4000
	v_mov_b32_e32 v84, v53
	s_movk_i32 s1, 0x6000
	s_mov_b32 s4, 0x57619f1
	v_mul_hi_u32 v1, v92, s4
	v_lshrrev_b32_e32 v1, 4, v1
	s_waitcnt vmcnt(3)
	v_pk_mul_f32 v[120:121], v[94:95], v[120:121] op_sel_hi:[1,0]
	v_pk_mul_f32 v[126:127], v[96:97], v[52:53] op_sel_hi:[1,0]
	v_pk_fma_f32 v[78:79], v[78:79], v[94:95], v[120:121] op_sel:[0,0,1] op_sel_hi:[1,1,0]
	v_pk_fma_f32 v[86:87], v[86:87], v[94:95], v[120:121] op_sel:[0,0,1] op_sel_hi:[0,1,0] neg_lo:[1,0,0] neg_hi:[1,0,0]
	s_waitcnt vmcnt(2)
	v_pk_mul_f32 v[122:123], v[102:103], v[122:123] op_sel_hi:[1,0]
	v_pk_fma_f32 v[128:129], v[20:21], v[96:97], v[126:127] op_sel:[0,0,1] op_sel_hi:[1,1,0]
	v_pk_fma_f32 v[70:71], v[70:71], v[96:97], v[126:127] op_sel:[0,0,1] op_sel_hi:[0,1,0] neg_lo:[1,0,0] neg_hi:[1,0,0]
	v_mov_b32_e32 v79, v87
	v_pk_mul_f32 v[124:125], v[104:105], v[124:125] op_sel_hi:[1,0]
	v_pk_fma_f32 v[94:95], v[110:111], v[102:103], v[122:123] op_sel:[0,0,1] op_sel_hi:[1,1,0]
	v_pk_fma_f32 v[96:97], v[112:113], v[102:103], v[122:123] op_sel:[0,0,1] op_sel_hi:[0,1,0] neg_lo:[1,0,0] neg_hi:[1,0,0]
	v_mov_b32_e32 v129, v71
	v_pk_add_f32 v[70:71], v[118:119], v[78:79]
	v_pk_fma_f32 v[102:103], v[114:115], v[104:105], v[124:125] op_sel:[0,0,1] op_sel_hi:[1,1,0]
	v_pk_fma_f32 v[104:105], v[116:117], v[104:105], v[124:125] op_sel:[0,0,1] op_sel_hi:[0,1,0] neg_lo:[1,0,0] neg_hi:[1,0,0]
	v_mov_b32_e32 v95, v97
	v_pk_add_f32 v[70:71], v[128:129], v[70:71]
	v_mov_b32_e32 v103, v105
	v_pk_add_f32 v[70:71], v[70:71], v[94:95]
	v_pk_add_f32 v[104:105], v[78:79], v[102:103] neg_lo:[0,1] neg_hi:[0,1]
	v_pk_add_f32 v[86:87], v[128:129], v[94:95]
	v_pk_add_f32 v[70:71], v[70:71], v[102:103]
	v_pk_add_f32 v[96:97], v[128:129], v[94:95] neg_lo:[0,1] neg_hi:[0,1]
	v_pk_fma_f32 v[86:87], v[86:87], 0.5, v[118:119] op_sel_hi:[1,0,1] neg_lo:[1,0,0] neg_hi:[1,0,0]
	v_pk_mul_f32 v[110:111], v[104:105], s[6:7] op_sel_hi:[1,0]
	global_store_dwordx2 v[62:63], v[70:71], off
	v_pk_add_f32 v[70:71], v[78:79], v[128:129] neg_lo:[0,1] neg_hi:[0,1]
	v_pk_add_f32 v[114:115], v[102:103], v[94:95] neg_lo:[0,1] neg_hi:[0,1]
	v_pk_mul_f32 v[112:113], v[96:97], s[8:9] op_sel_hi:[1,0]
	v_pk_add_f32 v[114:115], v[70:71], v[114:115]
	v_pk_add_f32 v[70:71], v[86:87], v[110:111] op_sel:[0,1] op_sel_hi:[1,0] neg_lo:[0,1] neg_hi:[0,1]
	v_pk_add_f32 v[86:87], v[86:87], v[110:111] op_sel:[0,1] op_sel_hi:[1,0]
	v_pk_add_f32 v[94:95], v[94:95], v[102:103] neg_lo:[0,1] neg_hi:[0,1]
	v_pk_add_f32 v[110:111], v[86:87], v[112:113] op_sel:[0,1] op_sel_hi:[1,0]
	v_pk_add_f32 v[112:113], v[70:71], v[112:113] op_sel:[0,1] op_sel_hi:[1,0] neg_lo:[0,1] neg_hi:[0,1]
	v_mov_b32_e32 v71, v111
	v_mov_b32_e32 v70, v112
	v_add_co_u32_e32 v86, vcc, s3, v62
	v_pk_fma_f32 v[70:71], v[114:115], s[2:3], v[70:71] op_sel_hi:[1,0,1]
	s_nop 0
	v_addc_co_u32_e32 v87, vcc, 0, v63, vcc
	global_store_dwordx2 v[86:87], v[70:71], off offset:1904
	v_pk_add_f32 v[70:71], v[128:129], v[78:79] neg_lo:[0,1] neg_hi:[0,1]
	v_mov_b32_e32 v111, v113
	v_pk_add_f32 v[94:95], v[70:71], v[94:95]
	v_pk_add_f32 v[70:71], v[78:79], v[102:103]
	v_pk_mul_f32 v[78:79], v[96:97], s[6:7] op_sel_hi:[1,0]
	v_pk_fma_f32 v[70:71], v[70:71], 0.5, v[118:119] op_sel_hi:[1,0,1] neg_lo:[1,0,0] neg_hi:[1,0,0]
	v_pk_mul_f32 v[96:97], v[104:105], s[8:9] op_sel_hi:[1,0]
	v_pk_add_f32 v[102:103], v[70:71], v[78:79] op_sel:[0,1] op_sel_hi:[1,0]
	v_pk_add_f32 v[70:71], v[70:71], v[78:79] op_sel:[0,1] op_sel_hi:[1,0] neg_lo:[0,1] neg_hi:[0,1]
	v_mov_b32_e32 v20, v37
	v_pk_add_f32 v[78:79], v[70:71], v[96:97] op_sel:[0,1] op_sel_hi:[1,0]
	v_pk_add_f32 v[96:97], v[102:103], v[96:97] op_sel:[0,1] op_sel_hi:[1,0] neg_lo:[0,1] neg_hi:[0,1]
	v_mov_b32_e32 v71, v79
	v_mov_b32_e32 v70, v96
	v_pk_fma_f32 v[102:103], v[94:95], s[2:3], v[70:71] op_sel_hi:[1,0,1]
	v_add_co_u32_e32 v70, vcc, s10, v62
	v_mov_b32_e32 v79, v97
	s_nop 0
	v_addc_co_u32_e32 v71, vcc, 0, v63, vcc
	v_pk_fma_f32 v[94:95], v[94:95], s[2:3], v[78:79] op_sel_hi:[1,0,1]
	v_add_co_u32_e32 v78, vcc, s0, v62
	s_movk_i32 s0, 0x5000
	s_nop 0
	v_addc_co_u32_e32 v79, vcc, 0, v63, vcc
	v_add_co_u32_e32 v82, vcc, s3, v82
	global_store_dwordx2 v[78:79], v[94:95], off offset:1616
	s_nop 0
	v_addc_co_u32_e32 v83, vcc, 0, v83, vcc
	global_load_dwordx4 v[94:97], v[82:83], off offset:1880
	v_add_co_u32_e32 v82, vcc, s0, v62
	global_store_dwordx2 v[70:71], v[102:103], off offset:3808
	v_pk_fma_f32 v[102:103], v[114:115], s[2:3], v[110:111] op_sel_hi:[1,0,1]
	v_addc_co_u32_e32 v83, vcc, 0, v63, vcc
	global_store_dwordx2 v[82:83], v[102:103], off offset:3520
	s_waitcnt vmcnt(7)
	v_pk_mul_f32 v[102:103], v[100:101], v[76:77] op_sel_hi:[1,0]
	s_nop 0
	v_pk_fma_f32 v[104:105], v[36:37], v[100:101], v[102:103] op_sel:[0,0,1] op_sel_hi:[1,1,0]
	v_pk_fma_f32 v[100:101], v[36:37], v[100:101], v[102:103] op_sel:[0,0,1] op_sel_hi:[0,1,0] neg_lo:[1,0,0] neg_hi:[1,0,0]
	v_mov_b32_e32 v105, v101
	v_pk_mul_f32 v[100:101], v[98:99], v[74:75] op_sel_hi:[1,0]
	s_nop 0
	v_pk_fma_f32 v[102:103], v[34:35], v[98:99], v[100:101] op_sel:[0,0,1] op_sel_hi:[1,1,0]
	v_pk_fma_f32 v[98:99], v[34:35], v[98:99], v[100:101] op_sel:[0,0,1] op_sel_hi:[0,1,0] neg_lo:[1,0,0] neg_hi:[1,0,0]
	v_mov_b32_e32 v103, v99
	global_load_dwordx4 v[98:101], v[88:89], off offset:16
	s_waitcnt vmcnt(7)
	v_pk_mul_f32 v[88:89], v[106:107], v[72:73] op_sel_hi:[1,0]
	v_pk_add_f32 v[52:53], v[84:85], v[102:103]
	v_pk_fma_f32 v[110:111], v[32:33], v[106:107], v[88:89] op_sel:[0,0,1] op_sel_hi:[1,1,0]
	v_pk_fma_f32 v[88:89], v[32:33], v[106:107], v[88:89] op_sel:[0,0,1] op_sel_hi:[0,1,0] neg_lo:[1,0,0] neg_hi:[1,0,0]
	v_mov_b32_e32 v111, v89
	v_pk_mul_f32 v[88:89], v[108:109], v[68:69] op_sel_hi:[1,0]
	v_pk_add_f32 v[52:53], v[104:105], v[52:53]
	v_pk_fma_f32 v[106:107], v[30:31], v[108:109], v[88:89] op_sel:[0,0,1] op_sel_hi:[1,1,0]
	v_pk_fma_f32 v[88:89], v[30:31], v[108:109], v[88:89] op_sel:[0,0,1] op_sel_hi:[0,1,0] neg_lo:[1,0,0] neg_hi:[1,0,0]
	v_mov_b32_e32 v107, v89
	v_pk_add_f32 v[52:53], v[52:53], v[110:111]
	v_pk_add_f32 v[88:89], v[102:103], v[106:107] neg_lo:[0,1] neg_hi:[0,1]
	v_pk_add_f32 v[52:53], v[52:53], v[106:107]
	global_store_dwordx2 v[62:63], v[52:53], off offset:1000
	v_pk_add_f32 v[52:53], v[104:105], v[110:111] neg_lo:[0,1] neg_hi:[0,1]
	v_pk_add_f32 v[108:109], v[104:105], v[110:111]
	v_pk_add_f32 v[116:117], v[102:103], v[104:105] neg_lo:[0,1] neg_hi:[0,1]
	v_pk_add_f32 v[104:105], v[104:105], v[102:103] neg_lo:[0,1] neg_hi:[0,1]
	v_pk_add_f32 v[102:103], v[102:103], v[106:107]
	v_pk_fma_f32 v[108:109], v[108:109], 0.5, v[84:85] op_sel_hi:[1,0,1] neg_lo:[1,0,0] neg_hi:[1,0,0]
	v_pk_mul_f32 v[114:115], v[52:53], s[8:9] op_sel_hi:[1,0]
	v_pk_fma_f32 v[84:85], v[102:103], 0.5, v[84:85] op_sel_hi:[1,0,1] neg_lo:[1,0,0] neg_hi:[1,0,0]
	v_pk_mul_f32 v[52:53], v[52:53], s[6:7] op_sel_hi:[1,0]
	v_pk_mul_f32 v[112:113], v[88:89], s[6:7] op_sel_hi:[1,0]
	;; [unrolled: 1-line block ×3, first 2 shown]
	v_pk_add_f32 v[102:103], v[84:85], v[52:53] op_sel:[0,1] op_sel_hi:[1,0]
	v_pk_add_f32 v[52:53], v[84:85], v[52:53] op_sel:[0,1] op_sel_hi:[1,0] neg_lo:[0,1] neg_hi:[0,1]
	v_pk_add_f32 v[118:119], v[106:107], v[110:111] neg_lo:[0,1] neg_hi:[0,1]
	v_pk_add_f32 v[110:111], v[110:111], v[106:107] neg_lo:[0,1] neg_hi:[0,1]
	v_pk_add_f32 v[84:85], v[52:53], v[88:89] op_sel:[0,1] op_sel_hi:[1,0]
	v_pk_add_f32 v[88:89], v[102:103], v[88:89] op_sel:[0,1] op_sel_hi:[1,0] neg_lo:[0,1] neg_hi:[0,1]
	v_pk_add_f32 v[104:105], v[104:105], v[110:111]
	v_mov_b32_e32 v52, v88
	v_mov_b32_e32 v53, v85
	v_pk_fma_f32 v[102:103], v[104:105], s[2:3], v[52:53] op_sel_hi:[1,0,1]
	v_add_co_u32_e32 v52, vcc, s9, v62
	v_pk_add_f32 v[116:117], v[116:117], v[118:119]
	v_pk_add_f32 v[118:119], v[108:109], v[112:113] op_sel:[0,1] op_sel_hi:[1,0] neg_lo:[0,1] neg_hi:[0,1]
	v_pk_add_f32 v[108:109], v[108:109], v[112:113] op_sel:[0,1] op_sel_hi:[1,0]
	v_addc_co_u32_e32 v53, vcc, 0, v63, vcc
	v_pk_add_f32 v[108:109], v[108:109], v[114:115] op_sel:[0,1] op_sel_hi:[1,0]
	v_pk_add_f32 v[112:113], v[118:119], v[114:115] op_sel:[0,1] op_sel_hi:[1,0] neg_lo:[0,1] neg_hi:[0,1]
	v_mov_b32_e32 v85, v89
	v_add_co_u32_e32 v66, vcc, s3, v66
	v_mov_b32_e32 v115, v109
	v_pk_fma_f32 v[84:85], v[104:105], s[2:3], v[84:85] op_sel_hi:[1,0,1]
	v_mov_b32_e32 v109, v113
	v_addc_co_u32_e32 v67, vcc, 0, v67, vcc
	global_store_dwordx2 v[52:53], v[102:103], off offset:712
	global_store_dwordx2 v[78:79], v[84:85], off offset:2616
	v_pk_fma_f32 v[84:85], v[116:117], s[2:3], v[108:109] op_sel_hi:[1,0,1]
	global_load_dwordx4 v[102:105], v[66:67], off offset:1880
	global_load_dwordx4 v[106:109], v[80:81], off offset:16
	v_add_co_u32_e32 v66, vcc, s1, v62
	v_mov_b32_e32 v30, v77
	s_nop 0
	v_addc_co_u32_e32 v67, vcc, 0, v63, vcc
	s_waitcnt vmcnt(8)
	v_pk_mul_f32 v[76:77], v[96:97], v[30:31] op_sel_hi:[1,0]
	global_store_dwordx2 v[66:67], v[84:85], off offset:424
	v_pk_fma_f32 v[84:85], v[20:21], v[96:97], v[76:77] op_sel:[0,0,1] op_sel_hi:[1,1,0]
	v_pk_fma_f32 v[36:37], v[20:21], v[96:97], v[76:77] op_sel:[0,0,1] op_sel_hi:[0,1,0] neg_lo:[1,0,0] neg_hi:[1,0,0]
	v_mov_b32_e32 v30, v75
	v_mov_b32_e32 v85, v37
	;; [unrolled: 1-line block ×3, first 2 shown]
	v_pk_mul_f32 v[36:37], v[94:95], v[30:31] op_sel_hi:[1,0]
	v_mov_b32_e32 v30, v73
	v_pk_fma_f32 v[74:75], v[20:21], v[94:95], v[36:37] op_sel:[0,0,1] op_sel_hi:[1,1,0]
	v_pk_fma_f32 v[34:35], v[20:21], v[94:95], v[36:37] op_sel:[0,0,1] op_sel_hi:[0,1,0] neg_lo:[1,0,0] neg_hi:[1,0,0]
	v_mov_b32_e32 v75, v35
	v_mov_b32_e32 v20, v33
	v_pk_add_f32 v[80:81], v[74:75], v[84:85] neg_lo:[0,1] neg_hi:[0,1]
	v_mov_b32_e32 v114, v112
	v_pk_fma_f32 v[114:115], v[116:117], s[2:3], v[114:115] op_sel_hi:[1,0,1]
	global_store_dwordx2 v[86:87], v[114:115], off offset:2904
	s_waitcnt vmcnt(7)
	v_pk_mul_f32 v[34:35], v[98:99], v[30:31] op_sel_hi:[1,0]
	v_mov_b32_e32 v30, v69
	v_pk_fma_f32 v[36:37], v[20:21], v[98:99], v[34:35] op_sel:[0,0,1] op_sel_hi:[1,1,0]
	v_pk_fma_f32 v[32:33], v[20:21], v[98:99], v[34:35] op_sel:[0,0,1] op_sel_hi:[0,1,0] neg_lo:[1,0,0] neg_hi:[1,0,0]
	v_mov_b32_e32 v37, v33
	v_mov_b32_e32 v20, v31
	v_pk_mul_f32 v[32:33], v[100:101], v[30:31] op_sel_hi:[1,0]
	v_pk_add_f32 v[68:69], v[84:85], v[36:37]
	v_pk_fma_f32 v[34:35], v[20:21], v[100:101], v[32:33] op_sel:[0,0,1] op_sel_hi:[1,1,0]
	v_pk_fma_f32 v[30:31], v[20:21], v[100:101], v[32:33] op_sel:[0,0,1] op_sel_hi:[0,1,0] neg_lo:[1,0,0] neg_hi:[1,0,0]
	v_mov_b32_e32 v35, v31
	v_pk_add_f32 v[30:31], v[28:29], v[74:75]
	v_pk_add_f32 v[32:33], v[74:75], v[34:35] neg_lo:[0,1] neg_hi:[0,1]
	v_pk_add_f32 v[30:31], v[84:85], v[30:31]
	v_pk_fma_f32 v[68:69], v[68:69], 0.5, v[28:29] op_sel_hi:[1,0,1] neg_lo:[1,0,0] neg_hi:[1,0,0]
	v_pk_add_f32 v[30:31], v[30:31], v[36:37]
	v_pk_mul_f32 v[72:73], v[32:33], s[6:7] op_sel_hi:[1,0]
	v_pk_add_f32 v[30:31], v[30:31], v[34:35]
	global_store_dwordx2 v[62:63], v[30:31], off offset:2000
	v_pk_add_f32 v[30:31], v[84:85], v[36:37] neg_lo:[0,1] neg_hi:[0,1]
	v_pk_add_f32 v[88:89], v[34:35], v[36:37] neg_lo:[0,1] neg_hi:[0,1]
	v_pk_mul_f32 v[76:77], v[30:31], s[8:9] op_sel_hi:[1,0]
	v_pk_add_f32 v[80:81], v[80:81], v[88:89]
	v_pk_add_f32 v[88:89], v[68:69], v[72:73] op_sel:[0,1] op_sel_hi:[1,0] neg_lo:[0,1] neg_hi:[0,1]
	v_pk_add_f32 v[68:69], v[68:69], v[72:73] op_sel:[0,1] op_sel_hi:[1,0]
	v_pk_add_f32 v[72:73], v[88:89], v[76:77] op_sel:[0,1] op_sel_hi:[1,0] neg_lo:[0,1] neg_hi:[0,1]
	v_pk_add_f32 v[68:69], v[68:69], v[76:77] op_sel:[0,1] op_sel_hi:[1,0]
	v_mov_b32_e32 v76, v72
	v_mov_b32_e32 v77, v69
	v_pk_add_f32 v[36:37], v[36:37], v[34:35] neg_lo:[0,1] neg_hi:[0,1]
	v_pk_add_f32 v[34:35], v[74:75], v[34:35]
	v_pk_fma_f32 v[76:77], v[80:81], s[2:3], v[76:77] op_sel_hi:[1,0,1]
	v_pk_fma_f32 v[28:29], v[34:35], 0.5, v[28:29] op_sel_hi:[1,0,1] neg_lo:[1,0,0] neg_hi:[1,0,0]
	v_pk_mul_f32 v[30:31], v[30:31], s[6:7] op_sel_hi:[1,0]
	global_store_dwordx2 v[86:87], v[76:77], off offset:3904
	v_pk_add_f32 v[76:77], v[84:85], v[74:75] neg_lo:[0,1] neg_hi:[0,1]
	v_pk_add_f32 v[34:35], v[28:29], v[30:31] op_sel:[0,1] op_sel_hi:[1,0]
	v_pk_add_f32 v[74:75], v[28:29], v[30:31] op_sel:[0,1] op_sel_hi:[1,0] neg_lo:[0,1] neg_hi:[0,1]
	v_add_co_u32_e32 v28, vcc, s3, v60
	v_pk_mul_f32 v[32:33], v[32:33], s[8:9] op_sel_hi:[1,0]
	s_nop 0
	v_addc_co_u32_e32 v29, vcc, 0, v61, vcc
	global_load_dwordx4 v[28:31], v[28:29], off offset:1880
	v_pk_add_f32 v[60:61], v[74:75], v[32:33] op_sel:[0,1] op_sel_hi:[1,0]
	v_pk_add_f32 v[32:33], v[34:35], v[32:33] op_sel:[0,1] op_sel_hi:[1,0] neg_lo:[0,1] neg_hi:[0,1]
	v_pk_add_f32 v[36:37], v[76:77], v[36:37]
	v_mov_b32_e32 v35, v61
	v_mov_b32_e32 v61, v33
	;; [unrolled: 1-line block ×3, first 2 shown]
	v_pk_fma_f32 v[32:33], v[36:37], s[2:3], v[60:61] op_sel_hi:[1,0,1]
	v_mov_b32_e32 v69, v73
	global_store_dwordx2 v[78:79], v[32:33], off offset:3616
	v_pk_fma_f32 v[32:33], v[80:81], s[2:3], v[68:69] op_sel_hi:[1,0,1]
	global_store_dwordx2 v[66:67], v[32:33], off offset:1424
	v_pk_fma_f32 v[34:35], v[36:37], s[2:3], v[34:35] op_sel_hi:[1,0,1]
	s_waitcnt vmcnt(8)
	v_pk_mul_f32 v[32:33], v[104:105], v[58:59] op_sel_hi:[1,0]
	global_store_dwordx2 v[52:53], v[34:35], off offset:1712
	v_pk_fma_f32 v[36:37], v[24:25], v[104:105], v[32:33] op_sel:[0,0,1] op_sel_hi:[1,1,0]
	v_pk_fma_f32 v[32:33], v[24:25], v[104:105], v[32:33] op_sel:[0,0,1] op_sel_hi:[0,1,0] neg_lo:[1,0,0] neg_hi:[1,0,0]
	v_mov_b32_e32 v37, v33
	v_pk_mul_f32 v[32:33], v[102:103], v[56:57] op_sel_hi:[1,0]
	v_mul_u32_u24_e32 v20, 0xbb8, v1
	v_pk_fma_f32 v[60:61], v[22:23], v[102:103], v[32:33] op_sel:[0,0,1] op_sel_hi:[1,1,0]
	v_pk_fma_f32 v[68:69], v[22:23], v[102:103], v[32:33] op_sel:[0,0,1] op_sel_hi:[0,1,0] neg_lo:[1,0,0] neg_hi:[1,0,0]
	global_load_dwordx4 v[32:35], v[64:65], off offset:16
	s_waitcnt vmcnt(9)
	v_pk_mul_f32 v[64:65], v[106:107], v[54:55] op_sel_hi:[1,0]
	v_mov_b32_e32 v61, v69
	v_pk_fma_f32 v[68:69], v[12:13], v[106:107], v[64:65] op_sel:[0,0,1] op_sel_hi:[1,1,0]
	v_pk_fma_f32 v[64:65], v[12:13], v[106:107], v[64:65] op_sel:[0,0,1] op_sel_hi:[0,1,0] neg_lo:[1,0,0] neg_hi:[1,0,0]
	v_mov_b32_e32 v69, v65
	v_pk_mul_f32 v[64:65], v[108:109], v[50:51] op_sel_hi:[1,0]
	v_pk_add_f32 v[76:77], v[36:37], v[68:69]
	v_pk_fma_f32 v[72:73], v[10:11], v[108:109], v[64:65] op_sel:[0,0,1] op_sel_hi:[1,1,0]
	v_pk_fma_f32 v[64:65], v[10:11], v[108:109], v[64:65] op_sel:[0,0,1] op_sel_hi:[0,1,0] neg_lo:[1,0,0] neg_hi:[1,0,0]
	v_mov_b32_e32 v73, v65
	s_waitcnt lgkmcnt(0)
	v_pk_add_f32 v[64:65], v[26:27], v[60:61]
	v_pk_add_f32 v[74:75], v[60:61], v[72:73] neg_lo:[0,1] neg_hi:[0,1]
	v_pk_add_f32 v[64:65], v[36:37], v[64:65]
	v_pk_add_f32 v[84:85], v[60:61], v[36:37] neg_lo:[0,1] neg_hi:[0,1]
	v_pk_add_f32 v[64:65], v[64:65], v[68:69]
	v_pk_fma_f32 v[76:77], v[76:77], 0.5, v[26:27] op_sel_hi:[1,0,1] neg_lo:[1,0,0] neg_hi:[1,0,0]
	v_pk_add_f32 v[64:65], v[64:65], v[72:73]
	global_store_dwordx2 v[62:63], v[64:65], off offset:3000
	v_pk_add_f32 v[64:65], v[36:37], v[68:69] neg_lo:[0,1] neg_hi:[0,1]
	v_pk_add_f32 v[36:37], v[36:37], v[60:61] neg_lo:[0,1] neg_hi:[0,1]
	v_pk_add_f32 v[60:61], v[60:61], v[72:73]
	v_pk_add_f32 v[86:87], v[72:73], v[68:69] neg_lo:[0,1] neg_hi:[0,1]
	v_pk_add_f32 v[68:69], v[68:69], v[72:73] neg_lo:[0,1] neg_hi:[0,1]
	v_pk_fma_f32 v[26:27], v[60:61], 0.5, v[26:27] op_sel_hi:[1,0,1] neg_lo:[1,0,0] neg_hi:[1,0,0]
	v_pk_mul_f32 v[60:61], v[64:65], s[6:7] op_sel_hi:[1,0]
	v_pk_mul_f32 v[78:79], v[74:75], s[6:7] op_sel_hi:[1,0]
	;; [unrolled: 1-line block ×3, first 2 shown]
	v_pk_add_f32 v[36:37], v[36:37], v[68:69]
	v_pk_mul_f32 v[64:65], v[74:75], s[8:9] op_sel_hi:[1,0]
	v_pk_add_f32 v[68:69], v[26:27], v[60:61] op_sel:[0,1] op_sel_hi:[1,0]
	v_pk_add_f32 v[26:27], v[26:27], v[60:61] op_sel:[0,1] op_sel_hi:[1,0] neg_lo:[0,1] neg_hi:[0,1]
	v_pk_add_f32 v[84:85], v[84:85], v[86:87]
	v_pk_add_f32 v[86:87], v[76:77], v[78:79] op_sel:[0,1] op_sel_hi:[1,0] neg_lo:[0,1] neg_hi:[0,1]
	v_pk_add_f32 v[76:77], v[76:77], v[78:79] op_sel:[0,1] op_sel_hi:[1,0]
	v_pk_add_f32 v[26:27], v[26:27], v[64:65] op_sel:[0,1] op_sel_hi:[1,0]
	v_pk_add_f32 v[60:61], v[68:69], v[64:65] op_sel:[0,1] op_sel_hi:[1,0] neg_lo:[0,1] neg_hi:[0,1]
	v_pk_add_f32 v[76:77], v[76:77], v[80:81] op_sel:[0,1] op_sel_hi:[1,0]
	v_pk_add_f32 v[78:79], v[86:87], v[80:81] op_sel:[0,1] op_sel_hi:[1,0] neg_lo:[0,1] neg_hi:[0,1]
	v_mov_b32_e32 v65, v27
	v_mov_b32_e32 v27, v61
	;; [unrolled: 1-line block ×3, first 2 shown]
	v_pk_fma_f32 v[26:27], v[36:37], s[2:3], v[26:27] op_sel_hi:[1,0,1]
	v_mov_b32_e32 v77, v79
	v_mov_b32_e32 v64, v60
	global_store_dwordx2 v[82:83], v[26:27], off offset:520
	v_pk_fma_f32 v[26:27], v[84:85], s[2:3], v[76:77] op_sel_hi:[1,0,1]
	v_mov_b32_e32 v12, v59
	v_pk_fma_f32 v[64:65], v[36:37], s[2:3], v[64:65] op_sel_hi:[1,0,1]
	global_store_dwordx2 v[66:67], v[26:27], off offset:2424
	v_mov_b32_e32 v10, v25
	global_store_dwordx2 v[52:53], v[64:65], off offset:2712
	v_add_co_u32_e32 v22, vcc, s3, v46
	v_mov_b32_e32 v80, v78
	v_pk_fma_f32 v[80:81], v[84:85], s[2:3], v[80:81] op_sel_hi:[1,0,1]
	v_lshl_add_u64 v[36:37], v[20:21], 3, v[62:63]
	global_store_dwordx2 v[70:71], v[80:81], off offset:808
	s_waitcnt vmcnt(9)
	v_pk_mul_f32 v[26:27], v[30:31], v[12:13] op_sel_hi:[1,0]
	v_mov_b32_e32 v12, v57
	v_pk_fma_f32 v[52:53], v[10:11], v[30:31], v[26:27] op_sel:[0,0,1] op_sel_hi:[1,1,0]
	v_pk_fma_f32 v[24:25], v[10:11], v[30:31], v[26:27] op_sel:[0,0,1] op_sel_hi:[0,1,0] neg_lo:[1,0,0] neg_hi:[1,0,0]
	v_mov_b32_e32 v53, v25
	v_mov_b32_e32 v10, v23
	v_pk_mul_f32 v[24:25], v[28:29], v[12:13] op_sel_hi:[1,0]
	v_addc_co_u32_e32 v23, vcc, 0, v47, vcc
	v_pk_fma_f32 v[30:31], v[10:11], v[28:29], v[24:25] op_sel:[0,0,1] op_sel_hi:[1,1,0]
	v_pk_fma_f32 v[26:27], v[10:11], v[28:29], v[24:25] op_sel:[0,0,1] op_sel_hi:[0,1,0] neg_lo:[1,0,0] neg_hi:[1,0,0]
	global_load_dwordx4 v[22:25], v[22:23], off offset:1880
	v_mov_b32_e32 v31, v27
	global_load_dwordx4 v[26:29], v[18:19], off offset:16
	v_mov_b32_e32 v12, v55
	v_mov_b32_e32 v10, v13
	v_pk_add_f32 v[54:55], v[30:31], v[52:53] neg_lo:[0,1] neg_hi:[0,1]
	v_mul_hi_u32 v1, v90, s4
	v_lshrrev_b32_e32 v1, 4, v1
	v_mad_u32_u24 v20, v1, s7, v90
	v_mov_b32_e32 v1, v38
	s_waitcnt vmcnt(7)
	v_pk_mul_f32 v[18:19], v[32:33], v[12:13] op_sel_hi:[1,0]
	s_nop 0
	v_pk_fma_f32 v[12:13], v[10:11], v[32:33], v[18:19] op_sel:[0,0,1] op_sel_hi:[0,1,0] neg_lo:[1,0,0] neg_hi:[1,0,0]
	v_pk_fma_f32 v[46:47], v[10:11], v[32:33], v[18:19] op_sel:[0,0,1] op_sel_hi:[1,1,0]
	v_mov_b32_e32 v12, v51
	v_mov_b32_e32 v47, v13
	;; [unrolled: 1-line block ×3, first 2 shown]
	v_pk_mul_f32 v[12:13], v[34:35], v[12:13] op_sel_hi:[1,0]
	v_pk_add_f32 v[32:33], v[52:53], v[46:47]
	v_pk_fma_f32 v[18:19], v[10:11], v[34:35], v[12:13] op_sel:[0,0,1] op_sel_hi:[1,1,0]
	v_pk_fma_f32 v[10:11], v[10:11], v[34:35], v[12:13] op_sel:[0,0,1] op_sel_hi:[0,1,0] neg_lo:[1,0,0] neg_hi:[1,0,0]
	v_mov_b32_e32 v19, v11
	v_pk_add_f32 v[10:11], v[14:15], v[30:31]
	v_pk_add_f32 v[12:13], v[30:31], v[18:19] neg_lo:[0,1] neg_hi:[0,1]
	v_pk_add_f32 v[10:11], v[52:53], v[10:11]
	v_pk_fma_f32 v[32:33], v[32:33], 0.5, v[14:15] op_sel_hi:[1,0,1] neg_lo:[1,0,0] neg_hi:[1,0,0]
	v_pk_add_f32 v[10:11], v[10:11], v[46:47]
	v_pk_mul_f32 v[34:35], v[12:13], s[6:7] op_sel_hi:[1,0]
	v_pk_add_f32 v[10:11], v[10:11], v[18:19]
	global_store_dwordx2 v[36:37], v[10:11], off offset:4000
	v_pk_add_f32 v[10:11], v[52:53], v[46:47] neg_lo:[0,1] neg_hi:[0,1]
	v_pk_add_f32 v[56:57], v[18:19], v[46:47] neg_lo:[0,1] neg_hi:[0,1]
	v_pk_mul_f32 v[50:51], v[10:11], s[8:9] op_sel_hi:[1,0]
	v_pk_add_f32 v[54:55], v[54:55], v[56:57]
	v_pk_add_f32 v[56:57], v[32:33], v[34:35] op_sel:[0,1] op_sel_hi:[1,0] neg_lo:[0,1] neg_hi:[0,1]
	v_pk_add_f32 v[32:33], v[32:33], v[34:35] op_sel:[0,1] op_sel_hi:[1,0]
	v_pk_add_f32 v[46:47], v[46:47], v[18:19] neg_lo:[0,1] neg_hi:[0,1]
	v_pk_add_f32 v[18:19], v[30:31], v[18:19]
	v_pk_add_f32 v[32:33], v[32:33], v[50:51] op_sel:[0,1] op_sel_hi:[1,0]
	v_pk_add_f32 v[34:35], v[56:57], v[50:51] op_sel:[0,1] op_sel_hi:[1,0] neg_lo:[0,1] neg_hi:[0,1]
	v_add_co_u32_e32 v56, vcc, s10, v36
	v_pk_fma_f32 v[14:15], v[18:19], 0.5, v[14:15] op_sel_hi:[1,0,1] neg_lo:[1,0,0] neg_hi:[1,0,0]
	v_pk_mul_f32 v[10:11], v[10:11], s[6:7] op_sel_hi:[1,0]
	v_mov_b32_e32 v50, v34
	v_mov_b32_e32 v51, v33
	v_addc_co_u32_e32 v57, vcc, 0, v37, vcc
	v_pk_mul_f32 v[12:13], v[12:13], s[8:9] op_sel_hi:[1,0]
	v_pk_add_f32 v[18:19], v[14:15], v[10:11] op_sel:[0,1] op_sel_hi:[1,0]
	v_pk_add_f32 v[10:11], v[14:15], v[10:11] op_sel:[0,1] op_sel_hi:[1,0] neg_lo:[0,1] neg_hi:[0,1]
	v_pk_fma_f32 v[50:51], v[54:55], s[2:3], v[50:51] op_sel_hi:[1,0,1]
	v_pk_add_f32 v[10:11], v[10:11], v[12:13] op_sel:[0,1] op_sel_hi:[1,0]
	v_pk_add_f32 v[12:13], v[18:19], v[12:13] op_sel:[0,1] op_sel_hi:[1,0] neg_lo:[0,1] neg_hi:[0,1]
	v_add_co_u32_e32 v18, vcc, s9, v36
	global_store_dwordx2 v[56:57], v[50:51], off offset:1808
	v_pk_add_f32 v[50:51], v[52:53], v[30:31] neg_lo:[0,1] neg_hi:[0,1]
	v_addc_co_u32_e32 v19, vcc, 0, v37, vcc
	v_pk_add_f32 v[46:47], v[50:51], v[46:47]
	v_mov_b32_e32 v14, v12
	v_mov_b32_e32 v15, v11
	;; [unrolled: 1-line block ×3, first 2 shown]
	v_add_co_u32_e32 v12, vcc, s0, v36
	v_pk_fma_f32 v[10:11], v[46:47], s[2:3], v[10:11] op_sel_hi:[1,0,1]
	s_nop 0
	v_addc_co_u32_e32 v13, vcc, 0, v37, vcc
	global_store_dwordx2 v[12:13], v[10:11], off offset:1520
	v_mov_b32_e32 v33, v35
	v_add_co_u32_e32 v12, vcc, s1, v36
	v_pk_fma_f32 v[10:11], v[54:55], s[2:3], v[32:33] op_sel_hi:[1,0,1]
	s_nop 0
	v_addc_co_u32_e32 v13, vcc, 0, v37, vcc
	v_pk_fma_f32 v[14:15], v[46:47], s[2:3], v[14:15] op_sel_hi:[1,0,1]
	global_store_dwordx2 v[12:13], v[10:11], off offset:3424
	global_store_dwordx2 v[18:19], v[14:15], off offset:3712
	v_lshl_add_u64 v[10:11], v[20:21], 3, v[16:17]
	s_waitcnt vmcnt(6)
	v_pk_mul_f32 v[12:13], v[24:25], v[48:49] op_sel_hi:[1,0]
	s_nop 0
	v_pk_fma_f32 v[14:15], v[6:7], v[24:25], v[12:13] op_sel:[0,0,1] op_sel_hi:[1,1,0]
	v_pk_fma_f32 v[6:7], v[6:7], v[24:25], v[12:13] op_sel:[0,0,1] op_sel_hi:[0,1,0] neg_lo:[1,0,0] neg_hi:[1,0,0]
	v_mov_b32_e32 v15, v7
	v_pk_mul_f32 v[6:7], v[22:23], v[44:45] op_sel_hi:[1,0]
	s_nop 0
	v_pk_fma_f32 v[12:13], v[4:5], v[22:23], v[6:7] op_sel:[0,0,1] op_sel_hi:[1,1,0]
	v_pk_fma_f32 v[4:5], v[4:5], v[22:23], v[6:7] op_sel:[0,0,1] op_sel_hi:[0,1,0] neg_lo:[1,0,0] neg_hi:[1,0,0]
	v_mov_b32_e32 v13, v5
	s_waitcnt vmcnt(5)
	v_pk_mul_f32 v[4:5], v[26:27], v[40:41] op_sel_hi:[1,0]
	v_pk_add_f32 v[22:23], v[12:13], v[14:15] neg_lo:[0,1] neg_hi:[0,1]
	v_pk_fma_f32 v[6:7], v[2:3], v[26:27], v[4:5] op_sel:[0,0,1] op_sel_hi:[1,1,0]
	v_pk_fma_f32 v[2:3], v[2:3], v[26:27], v[4:5] op_sel:[0,0,1] op_sel_hi:[0,1,0] neg_lo:[1,0,0] neg_hi:[1,0,0]
	v_mov_b32_e32 v7, v3
	v_pk_mul_f32 v[2:3], v[28:29], v[42:43] op_sel_hi:[1,0]
	v_pk_add_f32 v[16:17], v[14:15], v[6:7]
	v_pk_fma_f32 v[4:5], v[8:9], v[28:29], v[2:3] op_sel:[0,0,1] op_sel_hi:[1,1,0]
	v_pk_fma_f32 v[2:3], v[8:9], v[28:29], v[2:3] op_sel:[0,0,1] op_sel_hi:[0,1,0] neg_lo:[1,0,0] neg_hi:[1,0,0]
	v_mov_b32_e32 v5, v3
	v_pk_add_f32 v[2:3], v[0:1], v[12:13]
	v_pk_add_f32 v[8:9], v[12:13], v[4:5] neg_lo:[0,1] neg_hi:[0,1]
	v_pk_add_f32 v[2:3], v[14:15], v[2:3]
	v_pk_fma_f32 v[16:17], v[16:17], 0.5, v[0:1] op_sel_hi:[1,0,1] neg_lo:[1,0,0] neg_hi:[1,0,0]
	v_pk_add_f32 v[2:3], v[2:3], v[6:7]
	v_pk_mul_f32 v[18:19], v[8:9], s[6:7] op_sel_hi:[1,0]
	v_pk_add_f32 v[2:3], v[2:3], v[4:5]
	global_store_dwordx2 v[10:11], v[2:3], off
	v_pk_add_f32 v[2:3], v[14:15], v[6:7] neg_lo:[0,1] neg_hi:[0,1]
	v_pk_add_f32 v[24:25], v[4:5], v[6:7] neg_lo:[0,1] neg_hi:[0,1]
	v_pk_mul_f32 v[20:21], v[2:3], s[8:9] op_sel_hi:[1,0]
	v_pk_add_f32 v[22:23], v[22:23], v[24:25]
	v_pk_add_f32 v[24:25], v[16:17], v[18:19] op_sel:[0,1] op_sel_hi:[1,0] neg_lo:[0,1] neg_hi:[0,1]
	v_pk_add_f32 v[6:7], v[6:7], v[4:5] neg_lo:[0,1] neg_hi:[0,1]
	v_pk_add_f32 v[4:5], v[12:13], v[4:5]
	v_pk_add_f32 v[16:17], v[16:17], v[18:19] op_sel:[0,1] op_sel_hi:[1,0]
	v_pk_add_f32 v[18:19], v[24:25], v[20:21] op_sel:[0,1] op_sel_hi:[1,0] neg_lo:[0,1] neg_hi:[0,1]
	v_add_co_u32_e32 v24, vcc, s3, v10
	v_pk_fma_f32 v[0:1], v[4:5], 0.5, v[0:1] op_sel_hi:[1,0,1] neg_lo:[1,0,0] neg_hi:[1,0,0]
	v_pk_mul_f32 v[2:3], v[2:3], s[6:7] op_sel_hi:[1,0]
	v_addc_co_u32_e32 v25, vcc, 0, v11, vcc
	v_pk_mul_f32 v[4:5], v[8:9], s[8:9] op_sel_hi:[1,0]
	v_pk_add_f32 v[8:9], v[0:1], v[2:3] op_sel:[0,1] op_sel_hi:[1,0]
	v_pk_add_f32 v[0:1], v[0:1], v[2:3] op_sel:[0,1] op_sel_hi:[1,0] neg_lo:[0,1] neg_hi:[0,1]
	v_pk_add_f32 v[2:3], v[8:9], v[4:5] op_sel:[0,1] op_sel_hi:[1,0] neg_lo:[0,1] neg_hi:[0,1]
	v_add_co_u32_e32 v8, vcc, 0x2000, v10
	v_pk_add_f32 v[14:15], v[14:15], v[12:13] neg_lo:[0,1] neg_hi:[0,1]
	v_pk_add_f32 v[0:1], v[0:1], v[4:5] op_sel:[0,1] op_sel_hi:[1,0]
	v_addc_co_u32_e32 v9, vcc, 0, v11, vcc
	v_pk_add_f32 v[6:7], v[14:15], v[6:7]
	v_mov_b32_e32 v4, v2
	v_mov_b32_e32 v5, v1
	;; [unrolled: 1-line block ×3, first 2 shown]
	v_add_co_u32_e32 v2, vcc, 0x4000, v10
	v_pk_add_f32 v[16:17], v[16:17], v[20:21] op_sel:[0,1] op_sel_hi:[1,0]
	v_pk_fma_f32 v[0:1], v[6:7], s[2:3], v[0:1] op_sel_hi:[1,0,1]
	v_addc_co_u32_e32 v3, vcc, 0, v11, vcc
	v_mov_b32_e32 v20, v18
	v_mov_b32_e32 v21, v17
	global_store_dwordx2 v[2:3], v[0:1], off offset:1616
	v_mov_b32_e32 v17, v19
	v_add_co_u32_e32 v2, vcc, 0x5000, v10
	v_pk_fma_f32 v[20:21], v[22:23], s[2:3], v[20:21] op_sel_hi:[1,0,1]
	v_pk_fma_f32 v[4:5], v[6:7], s[2:3], v[4:5] op_sel_hi:[1,0,1]
	;; [unrolled: 1-line block ×3, first 2 shown]
	v_addc_co_u32_e32 v3, vcc, 0, v11, vcc
	global_store_dwordx2 v[24:25], v[20:21], off offset:1904
	global_store_dwordx2 v[8:9], v[4:5], off offset:3808
	;; [unrolled: 1-line block ×3, first 2 shown]
.LBB0_13:
	s_endpgm
	.section	.rodata,"a",@progbits
	.p2align	6, 0x0
	.amdhsa_kernel fft_rtc_back_len3750_factors_3_5_5_10_5_wgs_125_tpt_125_halfLds_sp_ip_CI_unitstride_sbrr_dirReg
		.amdhsa_group_segment_fixed_size 0
		.amdhsa_private_segment_fixed_size 0
		.amdhsa_kernarg_size 88
		.amdhsa_user_sgpr_count 2
		.amdhsa_user_sgpr_dispatch_ptr 0
		.amdhsa_user_sgpr_queue_ptr 0
		.amdhsa_user_sgpr_kernarg_segment_ptr 1
		.amdhsa_user_sgpr_dispatch_id 0
		.amdhsa_user_sgpr_kernarg_preload_length 0
		.amdhsa_user_sgpr_kernarg_preload_offset 0
		.amdhsa_user_sgpr_private_segment_size 0
		.amdhsa_uses_dynamic_stack 0
		.amdhsa_enable_private_segment 0
		.amdhsa_system_sgpr_workgroup_id_x 1
		.amdhsa_system_sgpr_workgroup_id_y 0
		.amdhsa_system_sgpr_workgroup_id_z 0
		.amdhsa_system_sgpr_workgroup_info 0
		.amdhsa_system_vgpr_workitem_id 0
		.amdhsa_next_free_vgpr 138
		.amdhsa_next_free_sgpr 22
		.amdhsa_accum_offset 140
		.amdhsa_reserve_vcc 1
		.amdhsa_float_round_mode_32 0
		.amdhsa_float_round_mode_16_64 0
		.amdhsa_float_denorm_mode_32 3
		.amdhsa_float_denorm_mode_16_64 3
		.amdhsa_dx10_clamp 1
		.amdhsa_ieee_mode 1
		.amdhsa_fp16_overflow 0
		.amdhsa_tg_split 0
		.amdhsa_exception_fp_ieee_invalid_op 0
		.amdhsa_exception_fp_denorm_src 0
		.amdhsa_exception_fp_ieee_div_zero 0
		.amdhsa_exception_fp_ieee_overflow 0
		.amdhsa_exception_fp_ieee_underflow 0
		.amdhsa_exception_fp_ieee_inexact 0
		.amdhsa_exception_int_div_zero 0
	.end_amdhsa_kernel
	.text
.Lfunc_end0:
	.size	fft_rtc_back_len3750_factors_3_5_5_10_5_wgs_125_tpt_125_halfLds_sp_ip_CI_unitstride_sbrr_dirReg, .Lfunc_end0-fft_rtc_back_len3750_factors_3_5_5_10_5_wgs_125_tpt_125_halfLds_sp_ip_CI_unitstride_sbrr_dirReg
                                        ; -- End function
	.section	.AMDGPU.csdata,"",@progbits
; Kernel info:
; codeLenInByte = 18440
; NumSgprs: 28
; NumVgprs: 138
; NumAgprs: 0
; TotalNumVgprs: 138
; ScratchSize: 0
; MemoryBound: 0
; FloatMode: 240
; IeeeMode: 1
; LDSByteSize: 0 bytes/workgroup (compile time only)
; SGPRBlocks: 3
; VGPRBlocks: 17
; NumSGPRsForWavesPerEU: 28
; NumVGPRsForWavesPerEU: 138
; AccumOffset: 140
; Occupancy: 3
; WaveLimiterHint : 1
; COMPUTE_PGM_RSRC2:SCRATCH_EN: 0
; COMPUTE_PGM_RSRC2:USER_SGPR: 2
; COMPUTE_PGM_RSRC2:TRAP_HANDLER: 0
; COMPUTE_PGM_RSRC2:TGID_X_EN: 1
; COMPUTE_PGM_RSRC2:TGID_Y_EN: 0
; COMPUTE_PGM_RSRC2:TGID_Z_EN: 0
; COMPUTE_PGM_RSRC2:TIDIG_COMP_CNT: 0
; COMPUTE_PGM_RSRC3_GFX90A:ACCUM_OFFSET: 34
; COMPUTE_PGM_RSRC3_GFX90A:TG_SPLIT: 0
	.text
	.p2alignl 6, 3212836864
	.fill 256, 4, 3212836864
	.type	__hip_cuid_4b04afaac4f6bec4,@object ; @__hip_cuid_4b04afaac4f6bec4
	.section	.bss,"aw",@nobits
	.globl	__hip_cuid_4b04afaac4f6bec4
__hip_cuid_4b04afaac4f6bec4:
	.byte	0                               ; 0x0
	.size	__hip_cuid_4b04afaac4f6bec4, 1

	.ident	"AMD clang version 19.0.0git (https://github.com/RadeonOpenCompute/llvm-project roc-6.4.0 25133 c7fe45cf4b819c5991fe208aaa96edf142730f1d)"
	.section	".note.GNU-stack","",@progbits
	.addrsig
	.addrsig_sym __hip_cuid_4b04afaac4f6bec4
	.amdgpu_metadata
---
amdhsa.kernels:
  - .agpr_count:     0
    .args:
      - .actual_access:  read_only
        .address_space:  global
        .offset:         0
        .size:           8
        .value_kind:     global_buffer
      - .offset:         8
        .size:           8
        .value_kind:     by_value
      - .actual_access:  read_only
        .address_space:  global
        .offset:         16
        .size:           8
        .value_kind:     global_buffer
      - .actual_access:  read_only
        .address_space:  global
        .offset:         24
        .size:           8
        .value_kind:     global_buffer
      - .offset:         32
        .size:           8
        .value_kind:     by_value
      - .actual_access:  read_only
        .address_space:  global
        .offset:         40
        .size:           8
        .value_kind:     global_buffer
      - .actual_access:  read_only
        .address_space:  global
        .offset:         48
        .size:           8
        .value_kind:     global_buffer
      - .offset:         56
        .size:           4
        .value_kind:     by_value
      - .actual_access:  read_only
        .address_space:  global
        .offset:         64
        .size:           8
        .value_kind:     global_buffer
      - .actual_access:  read_only
        .address_space:  global
        .offset:         72
        .size:           8
        .value_kind:     global_buffer
      - .address_space:  global
        .offset:         80
        .size:           8
        .value_kind:     global_buffer
    .group_segment_fixed_size: 0
    .kernarg_segment_align: 8
    .kernarg_segment_size: 88
    .language:       OpenCL C
    .language_version:
      - 2
      - 0
    .max_flat_workgroup_size: 125
    .name:           fft_rtc_back_len3750_factors_3_5_5_10_5_wgs_125_tpt_125_halfLds_sp_ip_CI_unitstride_sbrr_dirReg
    .private_segment_fixed_size: 0
    .sgpr_count:     28
    .sgpr_spill_count: 0
    .symbol:         fft_rtc_back_len3750_factors_3_5_5_10_5_wgs_125_tpt_125_halfLds_sp_ip_CI_unitstride_sbrr_dirReg.kd
    .uniform_work_group_size: 1
    .uses_dynamic_stack: false
    .vgpr_count:     138
    .vgpr_spill_count: 0
    .wavefront_size: 64
amdhsa.target:   amdgcn-amd-amdhsa--gfx950
amdhsa.version:
  - 1
  - 2
...

	.end_amdgpu_metadata
